;; amdgpu-corpus repo=triton-lang/triton kind=triton arch=gfx1201 opt=O3 lang=triton
	.amdgcn_target "amdgcn-amd-amdhsa--gfx1201"
	.amdhsa_code_object_version 5
	.text
	.globl	_attn_bwd                       ; -- Begin function _attn_bwd
	.p2align	8
	.type	_attn_bwd,@function
_attn_bwd:                              ; @_attn_bwd
.Lfunc_begin0:
	.file	1 "/root/src/amdgpu-assembly/repos/triton-lang__triton-aot" "attention_bwd.py"
	.loc	1 126 0                         ; attention_bwd.py:126:0
	.cfi_sections .debug_frame
	.cfi_startproc
; %bb.0:
	s_load_b64 s[10:11], s[0:1], 0x60
	s_lshr_b32 s6, ttmp7, 16
.Ltmp0:
	.loc	1 114 19 prologue_end           ; attention_bwd.py:114:19 @[ attention_bwd.py:253:40 ]
	s_bfe_u32 s42, ttmp8, 0x50019
                                        ; implicit-def: $vgpr253 : SGPR spill to VGPR lane
	s_load_b256 s[16:23], s[0:1], 0x40
.Ltmp1:
	.loc	1 165 36                        ; attention_bwd.py:165:36
	v_and_b32_e32 v184, 31, v0
	s_load_b128 s[24:27], s[0:1], 0x0
	v_and_b32_e32 v183, 15, v0
.Ltmp2:
	.loc	1 47 25                         ; attention_bwd.py:47:25 @[ attention_bwd.py:184:50 ]
	v_lshlrev_b32_e32 v129, 1, v0
.Ltmp3:
	.loc	1 171 16                        ; attention_bwd.py:171:16
	v_and_b32_e32 v188, 16, v0
                                        ; implicit-def: $vgpr255 : SGPR spill to VGPR lane
                                        ; implicit-def: $vgpr254 : SGPR spill to VGPR lane
	s_delay_alu instid0(VALU_DEP_3) | instskip(NEXT) | instid1(VALU_DEP_3)
	v_lshlrev_b32_e32 v159, 8, v183
.Ltmp4:
	.loc	1 47 25                         ; attention_bwd.py:47:25 @[ attention_bwd.py:184:50 ]
	v_and_b32_e32 v129, 32, v129
	s_delay_alu instid0(VALU_DEP_3)
	.loc	1 38 36                         ; attention_bwd.py:38:36 @[ attention_bwd.py:184:50 ]
	v_lshrrev_b32_e32 v132, 1, v188
.Ltmp5:
	.loc	1 144 55                        ; attention_bwd.py:144:55
	s_wait_kmcnt 0x0
	s_abs_i32 s4, s10
	s_ashr_i32 s7, s10, 31
	s_cvt_f32_u32 s2, s4
	s_sub_co_i32 s3, 0, s4
	s_delay_alu instid0(SALU_CYCLE_2) | instskip(NEXT) | instid1(TRANS32_DEP_1)
	v_rcp_iflag_f32_e32 v1, s2
	v_readfirstlane_b32 s2, v1
	s_mul_f32 s2, s2, 0x4f7ffffe
	s_wait_alu depctr_sa_sdst(0)
	s_delay_alu instid0(SALU_CYCLE_2) | instskip(SKIP_1) | instid1(SALU_CYCLE_2)
	s_cvt_u32_f32 s2, s2
	s_wait_alu depctr_sa_sdst(0)
	s_mul_i32 s3, s3, s2
	s_wait_alu depctr_sa_sdst(0)
	s_mul_hi_u32 s3, s2, s3
	s_wait_alu depctr_sa_sdst(0)
	s_add_co_i32 s3, s2, s3
	.loc	1 143 22                        ; attention_bwd.py:143:22
	s_mul_i32 s2, s11, s6
	.loc	1 144 55                        ; attention_bwd.py:144:55
	s_wait_alu depctr_sa_sdst(0)
	s_mul_hi_u32 s5, s6, s3
	.loc	1 143 32                        ; attention_bwd.py:143:32
	s_ashr_i32 s3, s2, 31
	.loc	1 144 55                        ; attention_bwd.py:144:55
	s_mul_i32 s8, s5, s4
	s_add_co_i32 s9, s5, 1
	s_sub_co_i32 s8, s6, s8
	s_delay_alu instid0(SALU_CYCLE_1)
	s_sub_co_i32 s12, s8, s4
	s_cmp_ge_u32 s8, s4
	s_cselect_b32 s5, s9, s5
	s_cselect_b32 s8, s12, s8
	s_add_co_i32 s9, s5, 1
	s_cmp_ge_u32 s8, s4
	s_cselect_b32 s4, s9, s5
	.loc	1 165 36                        ; attention_bwd.py:165:36
	s_bfe_u32 s81, s42, 0x10002
	s_lshl_b32 s33, s42, 5
	s_or_b32 s35, s81, 16
	s_or_b32 s30, s81, 18
	v_writelane_b32 v253, s35, 0
	s_or_b32 s15, s81, 20
	s_or_b32 s14, s81, 22
	v_or_b32_e32 v237, s33, v184
	s_or_b32 s13, s81, 24
	v_writelane_b32 v253, s30, 1
	s_or_b32 s9, s81, 26
	.loc	1 144 55                        ; attention_bwd.py:144:55
	s_xor_b32 s4, s4, s7
	.loc	1 171 58                        ; attention_bwd.py:171:58
	v_and_b32_e32 v131, 0x7f, v237
	.loc	1 161 20                        ; attention_bwd.py:161:20
	s_lshl_b32 s34, ttmp9, 6
	v_writelane_b32 v253, s15, 2
	.loc	1 165 36                        ; attention_bwd.py:165:36
	s_or_b32 s12, s81, 28
	.loc	1 144 55                        ; attention_bwd.py:144:55
	s_sub_co_i32 s4, s4, s7
	.loc	1 171 69                        ; attention_bwd.py:171:69
	v_mul_lo_u32 v1, s23, v131
	.loc	1 165 23                        ; attention_bwd.py:165:23
	s_wait_alu depctr_sa_sdst(0)
	s_or_b32 s46, s13, s34
	v_writelane_b32 v253, s14, 3
	.loc	1 165 36 is_stmt 0              ; attention_bwd.py:165:36
	s_or_b32 s80, s81, 2
	.loc	1 165 23                        ; attention_bwd.py:165:23
	s_or_b32 s104, s81, s34
	.loc	1 165 36                        ; attention_bwd.py:165:36
	s_or_b32 s79, s81, 4
	s_or_b32 s78, s81, 6
	v_writelane_b32 v253, s13, 4
	.loc	1 165 23                        ; attention_bwd.py:165:23
	s_or_b32 s13, s12, s34
	.loc	1 171 51 is_stmt 1              ; attention_bwd.py:171:51
	v_ashrrev_i32_e32 v2, 31, v1
	.loc	1 165 23                        ; attention_bwd.py:165:23
	s_or_b32 s8, s80, s34
	s_or_b32 s28, s79, s34
	v_writelane_b32 v253, s9, 5
	s_or_b32 s29, s78, s34
	s_or_b32 s9, s9, s34
	.loc	1 171 38                        ; attention_bwd.py:171:38
	s_mul_i32 s8, s22, s8
	s_wait_alu depctr_sa_sdst(0)
	s_mul_i32 s64, s22, s13
	v_writelane_b32 v253, s12, 6
	.loc	1 144 30                        ; attention_bwd.py:144:30
	s_mul_i32 s12, s4, s10
	.loc	1 144 47 is_stmt 0              ; attention_bwd.py:144:47
	s_mul_i32 s4, s4, s20
	.loc	1 144 30                        ; attention_bwd.py:144:30
	s_wait_alu depctr_sa_sdst(0)
	s_sub_co_i32 s6, s6, s12
	.loc	1 171 38 is_stmt 1              ; attention_bwd.py:171:38
	s_mul_i32 s12, s22, s104
	.loc	1 144 23                        ; attention_bwd.py:144:23
	s_mul_i32 s6, s6, s21
	.loc	1 171 20                        ; attention_bwd.py:171:20
	s_wait_alu depctr_sa_sdst(0)
	s_ashr_i32 s13, s12, 31
	.loc	1 144 35                        ; attention_bwd.py:144:35
	s_add_co_i32 s20, s4, s6
	.loc	1 171 51                        ; attention_bwd.py:171:51
	v_lshlrev_b64_e32 v[211:212], 1, v[1:2]
	.loc	1 144 62                        ; attention_bwd.py:144:62
	s_ashr_i32 s21, s20, 31
	.loc	1 165 36                        ; attention_bwd.py:165:36
	s_or_b32 s5, s81, 30
	.loc	1 148 9                         ; attention_bwd.py:148:9
	s_lshl_b64 s[20:21], s[20:21], 1
	.loc	1 165 23                        ; attention_bwd.py:165:23
	s_or_b32 s43, s30, s34
	s_or_b32 s7, s104, 40
	.loc	1 171 38                        ; attention_bwd.py:171:38
	s_mul_i32 s6, s22, s28
	s_mul_i32 s4, s22, s29
	s_load_b96 s[28:30], s[0:1], 0x10
	.loc	1 149 9                         ; attention_bwd.py:149:9
	s_add_nc_u64 s[38:39], s[26:27], s[20:21]
	.loc	1 171 38                        ; attention_bwd.py:171:38
	s_mul_i32 s62, s22, s9
	.loc	1 171 20 is_stmt 0              ; attention_bwd.py:171:20
	s_lshl_b64 s[74:75], s[12:13], 1
	s_ashr_i32 s9, s8, 31
	.loc	1 165 36 is_stmt 1              ; attention_bwd.py:165:36
	s_or_b32 s77, s81, 8
	.loc	1 165 23 is_stmt 0              ; attention_bwd.py:165:23
	s_or_b32 s45, s14, s34
	v_writelane_b32 v253, s5, 8
	s_or_b32 s14, s5, s34
	s_or_b32 s5, s104, 42
	.loc	1 171 38 is_stmt 1              ; attention_bwd.py:171:38
	s_mul_i32 s96, s22, s7
	.loc	1 171 20 is_stmt 0              ; attention_bwd.py:171:20
	s_add_nc_u64 s[12:13], s[38:39], s[74:75]
	s_wait_alu depctr_sa_sdst(0)
	s_lshl_b64 s[100:101], s[8:9], 1
	s_ashr_i32 s7, s6, 31
	.loc	1 165 23 is_stmt 1              ; attention_bwd.py:165:23
	s_or_b32 s47, s77, s34
	.loc	1 171 38                        ; attention_bwd.py:171:38
	s_mul_i32 s66, s22, s14
	s_mul_i32 s14, s22, s5
	.loc	1 171 51 is_stmt 0              ; attention_bwd.py:171:51
	v_add_co_u32 v1, vcc_lo, s12, v211
	.loc	1 171 20                        ; attention_bwd.py:171:20
	s_add_nc_u64 s[8:9], s[38:39], s[100:101]
	s_lshl_b64 s[68:69], s[6:7], 1
	s_ashr_i32 s5, s4, 31
	.loc	1 165 36 is_stmt 1              ; attention_bwd.py:165:36
	s_or_b32 s76, s81, 10
	.loc	1 171 38                        ; attention_bwd.py:171:38
	s_mul_i32 s52, s22, s47
	.loc	1 171 51 is_stmt 0              ; attention_bwd.py:171:51
	v_add_co_ci_u32_e64 v2, null, s13, v212, vcc_lo
	s_wait_alu depctr_sa_sdst(0)
	v_add_co_u32 v3, vcc_lo, s8, v211
	.loc	1 171 20                        ; attention_bwd.py:171:20
	s_add_nc_u64 s[6:7], s[38:39], s[68:69]
	s_lshl_b64 s[92:93], s[4:5], 1
	.loc	1 165 36 is_stmt 1              ; attention_bwd.py:165:36
	s_or_b32 s31, s81, 12
	.loc	1 165 23 is_stmt 0              ; attention_bwd.py:165:23
	s_or_b32 s48, s76, s34
	.loc	1 171 51 is_stmt 1              ; attention_bwd.py:171:51
	s_wait_alu depctr_va_vcc(0)
	v_add_co_ci_u32_e64 v4, null, s9, v212, vcc_lo
	.loc	1 171 20 is_stmt 0              ; attention_bwd.py:171:20
	s_ashr_i32 s53, s52, 31
	.loc	1 171 51                        ; attention_bwd.py:171:51
	v_add_co_u32 v5, vcc_lo, s6, v211
	.loc	1 171 20                        ; attention_bwd.py:171:20
	s_add_nc_u64 s[4:5], s[38:39], s[92:93]
	.loc	1 165 23 is_stmt 1              ; attention_bwd.py:165:23
	s_wait_alu depctr_sa_sdst(0)
	s_or_b32 s49, s31, s34
	.loc	1 171 38                        ; attention_bwd.py:171:38
	s_mul_i32 s48, s22, s48
	.loc	1 171 51 is_stmt 0              ; attention_bwd.py:171:51
	s_wait_alu depctr_va_vcc(0)
	v_add_co_ci_u32_e64 v6, null, s7, v212, vcc_lo
	.loc	1 171 20                        ; attention_bwd.py:171:20
	s_lshl_b64 s[94:95], s[52:53], 1
	.loc	1 171 51                        ; attention_bwd.py:171:51
	v_add_co_u32 v7, vcc_lo, s4, v211
	.loc	1 171 38                        ; attention_bwd.py:171:38
	s_mul_i32 s54, s22, s49
	.loc	1 171 20                        ; attention_bwd.py:171:20
	s_ashr_i32 s49, s48, 31
	.loc	1 171 51                        ; attention_bwd.py:171:51
	s_wait_alu depctr_va_vcc(0)
	v_add_co_ci_u32_e64 v8, null, s5, v212, vcc_lo
	.loc	1 171 20                        ; attention_bwd.py:171:20
	s_add_nc_u64 s[4:5], s[38:39], s[94:95]
	.loc	1 165 36 is_stmt 1              ; attention_bwd.py:165:36
	s_or_b32 vcc_hi, s81, 14
	.loc	1 171 20                        ; attention_bwd.py:171:20
	s_lshl_b64 s[98:99], s[48:49], 1
	.loc	1 171 51 is_stmt 0              ; attention_bwd.py:171:51
	s_wait_alu depctr_sa_sdst(0)
	v_add_co_u32 v9, vcc_lo, s4, v211
	.loc	1 165 23 is_stmt 1              ; attention_bwd.py:165:23
	s_or_b32 s50, vcc_hi, s34
	.loc	1 171 20                        ; attention_bwd.py:171:20
	s_ashr_i32 s55, s54, 31
	.loc	1 171 51 is_stmt 0              ; attention_bwd.py:171:51
	v_add_co_ci_u32_e64 v10, null, s5, v212, vcc_lo
	.loc	1 171 20                        ; attention_bwd.py:171:20
	s_add_nc_u64 s[4:5], s[38:39], s[98:99]
	.loc	1 165 23 is_stmt 1              ; attention_bwd.py:165:23
	s_or_b32 s51, s35, s34
	.loc	1 171 38                        ; attention_bwd.py:171:38
	s_mul_i32 s50, s22, s50
	.loc	1 171 20 is_stmt 0              ; attention_bwd.py:171:20
	s_lshl_b64 s[70:71], s[54:55], 1
	.loc	1 171 51                        ; attention_bwd.py:171:51
	s_wait_alu depctr_sa_sdst(0)
	v_add_co_u32 v11, vcc_lo, s4, v211
	.loc	1 171 38                        ; attention_bwd.py:171:38
	s_mul_i32 s56, s22, s51
	.loc	1 171 20                        ; attention_bwd.py:171:20
	s_ashr_i32 s51, s50, 31
	.loc	1 171 51                        ; attention_bwd.py:171:51
	s_wait_alu depctr_va_vcc(0)
	v_add_co_ci_u32_e64 v12, null, s5, v212, vcc_lo
	.loc	1 171 20                        ; attention_bwd.py:171:20
	s_add_nc_u64 s[4:5], s[38:39], s[70:71]
	s_lshl_b64 s[102:103], s[50:51], 1
	.loc	1 171 51                        ; attention_bwd.py:171:51
	s_wait_alu depctr_sa_sdst(0)
	v_add_co_u32 v13, vcc_lo, s4, v211
	.loc	1 171 20                        ; attention_bwd.py:171:20
	s_ashr_i32 s57, s56, 31
	.loc	1 171 51                        ; attention_bwd.py:171:51
	s_wait_alu depctr_va_vcc(0)
	v_add_co_ci_u32_e64 v14, null, s5, v212, vcc_lo
	.loc	1 171 20                        ; attention_bwd.py:171:20
	s_add_nc_u64 s[4:5], s[38:39], s[102:103]
	.loc	1 171 38                        ; attention_bwd.py:171:38
	s_mul_i32 s58, s22, s43
	.loc	1 171 20                        ; attention_bwd.py:171:20
	s_lshl_b64 s[82:83], s[56:57], 1
	.loc	1 171 51                        ; attention_bwd.py:171:51
	s_wait_alu depctr_sa_sdst(0)
	v_add_co_u32 v15, vcc_lo, s4, v211
	.loc	1 165 23 is_stmt 1              ; attention_bwd.py:165:23
	s_or_b32 s44, s15, s34
	.loc	1 171 20                        ; attention_bwd.py:171:20
	s_ashr_i32 s59, s58, 31
	.loc	1 171 51 is_stmt 0              ; attention_bwd.py:171:51
	s_wait_alu depctr_va_vcc(0)
	v_add_co_ci_u32_e64 v16, null, s5, v212, vcc_lo
	.loc	1 171 20                        ; attention_bwd.py:171:20
	s_add_nc_u64 s[4:5], s[38:39], s[82:83]
	.loc	1 171 38                        ; attention_bwd.py:171:38
	s_mul_i32 s44, s22, s44
	.loc	1 171 20                        ; attention_bwd.py:171:20
	s_lshl_b64 s[48:49], s[58:59], 1
	.loc	1 171 51                        ; attention_bwd.py:171:51
	s_wait_alu depctr_sa_sdst(0)
	v_add_co_u32 v17, vcc_lo, s4, v211
	.loc	1 171 38                        ; attention_bwd.py:171:38
	s_mul_i32 s60, s22, s45
	.loc	1 171 20                        ; attention_bwd.py:171:20
	s_ashr_i32 s45, s44, 31
	.loc	1 171 51                        ; attention_bwd.py:171:51
	s_wait_alu depctr_va_vcc(0)
	v_add_co_ci_u32_e64 v18, null, s5, v212, vcc_lo
	.loc	1 171 20                        ; attention_bwd.py:171:20
	s_add_nc_u64 s[4:5], s[38:39], s[48:49]
	s_lshl_b64 s[44:45], s[44:45], 1
	.loc	1 171 51                        ; attention_bwd.py:171:51
	s_wait_alu depctr_sa_sdst(0)
	v_add_co_u32 v19, vcc_lo, s4, v211
	.loc	1 171 20                        ; attention_bwd.py:171:20
	s_ashr_i32 s61, s60, 31
	.loc	1 171 51                        ; attention_bwd.py:171:51
	s_wait_alu depctr_va_vcc(0)
	v_add_co_ci_u32_e64 v20, null, s5, v212, vcc_lo
	.loc	1 171 20                        ; attention_bwd.py:171:20
	s_add_nc_u64 s[4:5], s[38:39], s[44:45]
	.loc	1 171 38                        ; attention_bwd.py:171:38
	s_mul_i32 s46, s22, s46
	.loc	1 171 20                        ; attention_bwd.py:171:20
	s_lshl_b64 s[50:51], s[60:61], 1
	.loc	1 171 51                        ; attention_bwd.py:171:51
	s_wait_alu depctr_sa_sdst(0)
	v_add_co_u32 v21, vcc_lo, s4, v211
	.loc	1 171 20                        ; attention_bwd.py:171:20
	s_ashr_i32 s47, s46, 31
	.loc	1 171 51                        ; attention_bwd.py:171:51
	s_wait_alu depctr_va_vcc(0)
	v_add_co_ci_u32_e64 v22, null, s5, v212, vcc_lo
	.loc	1 171 20                        ; attention_bwd.py:171:20
	s_add_nc_u64 s[4:5], s[38:39], s[50:51]
	s_lshl_b64 s[46:47], s[46:47], 1
	.loc	1 171 51                        ; attention_bwd.py:171:51
	s_wait_alu depctr_sa_sdst(0)
	v_add_co_u32 v23, vcc_lo, s4, v211
	.loc	1 171 20                        ; attention_bwd.py:171:20
	s_ashr_i32 s63, s62, 31
	.loc	1 171 51                        ; attention_bwd.py:171:51
	s_wait_alu depctr_va_vcc(0)
	v_add_co_ci_u32_e64 v24, null, s5, v212, vcc_lo
	.loc	1 171 20                        ; attention_bwd.py:171:20
	s_add_nc_u64 s[4:5], s[38:39], s[46:47]
	s_lshl_b64 s[52:53], s[62:63], 1
	.loc	1 171 51                        ; attention_bwd.py:171:51
	s_wait_alu depctr_sa_sdst(0)
	v_add_co_u32 v25, vcc_lo, s4, v211
	.loc	1 165 23 is_stmt 1              ; attention_bwd.py:165:23
	s_or_b32 s36, s104, 32
	.loc	1 171 20                        ; attention_bwd.py:171:20
	s_ashr_i32 s65, s64, 31
	.loc	1 171 51 is_stmt 0              ; attention_bwd.py:171:51
	s_wait_alu depctr_va_vcc(0)
	v_add_co_ci_u32_e64 v26, null, s5, v212, vcc_lo
	.loc	1 171 20                        ; attention_bwd.py:171:20
	s_add_nc_u64 s[4:5], s[38:39], s[52:53]
	.loc	1 165 23 is_stmt 1              ; attention_bwd.py:165:23
	s_or_b32 s37, s104, 34
	.loc	1 171 38                        ; attention_bwd.py:171:38
	s_mul_i32 s36, s22, s36
	.loc	1 171 20 is_stmt 0              ; attention_bwd.py:171:20
	s_lshl_b64 s[54:55], s[64:65], 1
	s_ashr_i32 s67, s66, 31
	.loc	1 171 51                        ; attention_bwd.py:171:51
	s_wait_alu depctr_sa_sdst(0)
	v_add_co_u32 v27, vcc_lo, s4, v211
	.loc	1 171 38                        ; attention_bwd.py:171:38
	s_mul_i32 s86, s22, s37
	.loc	1 171 51                        ; attention_bwd.py:171:51
	s_wait_alu depctr_va_vcc(0)
	v_add_co_ci_u32_e64 v28, null, s5, v212, vcc_lo
	.loc	1 171 20                        ; attention_bwd.py:171:20
	s_add_nc_u64 s[4:5], s[38:39], s[54:55]
	s_lshl_b64 s[56:57], s[66:67], 1
	s_ashr_i32 s37, s36, 31
	.loc	1 171 51                        ; attention_bwd.py:171:51
	s_wait_alu depctr_sa_sdst(0)
	v_add_co_u32 v29, vcc_lo, s4, v211
	.loc	1 171 20                        ; attention_bwd.py:171:20
	s_add_nc_u64 s[6:7], s[38:39], s[56:57]
	s_lshl_b64 s[58:59], s[36:37], 1
	.loc	1 165 23 is_stmt 1              ; attention_bwd.py:165:23
	s_or_b32 s40, s104, 36
	.loc	1 171 51                        ; attention_bwd.py:171:51
	s_wait_alu depctr_va_vcc(0)
	v_add_co_ci_u32_e64 v30, null, s5, v212, vcc_lo
	s_wait_alu depctr_sa_sdst(0)
	v_add_co_u32 v31, vcc_lo, s6, v211
	.loc	1 171 20 is_stmt 0              ; attention_bwd.py:171:20
	s_ashr_i32 s87, s86, 31
	s_add_nc_u64 s[8:9], s[38:39], s[58:59]
	.loc	1 165 23 is_stmt 1              ; attention_bwd.py:165:23
	s_or_b32 s41, s104, 38
	.loc	1 171 38                        ; attention_bwd.py:171:38
	s_mul_i32 s40, s22, s40
	.loc	1 171 51 is_stmt 0              ; attention_bwd.py:171:51
	s_wait_alu depctr_va_vcc(0)
	v_add_co_ci_u32_e64 v32, null, s7, v212, vcc_lo
	.loc	1 171 20                        ; attention_bwd.py:171:20
	s_lshl_b64 s[60:61], s[86:87], 1
	.loc	1 171 51                        ; attention_bwd.py:171:51
	s_wait_alu depctr_sa_sdst(0)
	v_add_co_u32 v33, vcc_lo, s8, v211
	.loc	1 171 38                        ; attention_bwd.py:171:38
	s_mul_i32 s90, s22, s41
	.loc	1 171 20                        ; attention_bwd.py:171:20
	s_ashr_i32 s41, s40, 31
	.loc	1 171 51                        ; attention_bwd.py:171:51
	s_wait_alu depctr_va_vcc(0)
	v_add_co_ci_u32_e64 v34, null, s9, v212, vcc_lo
	.loc	1 171 20                        ; attention_bwd.py:171:20
	s_add_nc_u64 s[8:9], s[38:39], s[60:61]
	s_lshl_b64 s[40:41], s[40:41], 1
	.loc	1 171 51                        ; attention_bwd.py:171:51
	s_wait_alu depctr_sa_sdst(0)
	v_add_co_u32 v35, vcc_lo, s8, v211
	.loc	1 171 20                        ; attention_bwd.py:171:20
	s_ashr_i32 s91, s90, 31
	.loc	1 171 51                        ; attention_bwd.py:171:51
	s_wait_alu depctr_va_vcc(0)
	v_add_co_ci_u32_e64 v36, null, s9, v212, vcc_lo
	.loc	1 171 20                        ; attention_bwd.py:171:20
	s_add_nc_u64 s[8:9], s[38:39], s[40:41]
	s_lshl_b64 s[62:63], s[90:91], 1
	.loc	1 171 51                        ; attention_bwd.py:171:51
	s_wait_alu depctr_sa_sdst(0)
	v_add_co_u32 v37, vcc_lo, s8, v211
	.loc	1 171 20                        ; attention_bwd.py:171:20
	s_ashr_i32 s97, s96, 31
	.loc	1 171 51                        ; attention_bwd.py:171:51
	s_wait_alu depctr_va_vcc(0)
	v_add_co_ci_u32_e64 v38, null, s9, v212, vcc_lo
	.loc	1 171 20                        ; attention_bwd.py:171:20
	s_add_nc_u64 s[8:9], s[38:39], s[62:63]
	.loc	1 165 23 is_stmt 1              ; attention_bwd.py:165:23
	s_or_b32 s35, s104, 44
	s_or_b32 s15, s104, 46
	.loc	1 171 20                        ; attention_bwd.py:171:20
	s_lshl_b64 s[64:65], s[96:97], 1
	.loc	1 171 51 is_stmt 0              ; attention_bwd.py:171:51
	s_wait_alu depctr_sa_sdst(0)
	v_add_co_u32 v39, vcc_lo, s8, v211
	.loc	1 171 38                        ; attention_bwd.py:171:38
	s_mul_i32 s4, s22, s35
	s_mul_i32 s6, s22, s15
	.loc	1 171 20                        ; attention_bwd.py:171:20
	s_ashr_i32 s15, s14, 31
	.loc	1 171 51                        ; attention_bwd.py:171:51
	s_wait_alu depctr_va_vcc(0)
	v_add_co_ci_u32_e64 v40, null, s9, v212, vcc_lo
	.loc	1 171 20                        ; attention_bwd.py:171:20
	s_add_nc_u64 s[8:9], s[38:39], s[64:65]
	s_wait_alu depctr_sa_sdst(0)
	s_lshl_b64 s[14:15], s[14:15], 1
	s_ashr_i32 s5, s4, 31
	.loc	1 171 51                        ; attention_bwd.py:171:51
	v_add_co_u32 v41, vcc_lo, s8, v211
	s_wait_alu depctr_va_vcc(0)
	v_add_co_ci_u32_e64 v42, null, s9, v212, vcc_lo
	.loc	1 171 20                        ; attention_bwd.py:171:20
	s_wait_alu depctr_sa_sdst(0)
	s_lshl_b64 s[8:9], s[4:5], 1
	s_add_nc_u64 s[4:5], s[38:39], s[14:15]
	.loc	1 165 23 is_stmt 1              ; attention_bwd.py:165:23
	s_or_b32 s10, s104, 48
	.loc	1 171 51                        ; attention_bwd.py:171:51
	s_wait_alu depctr_sa_sdst(0)
	v_add_co_u32 v43, vcc_lo, s4, v211
	.loc	1 171 20 is_stmt 0              ; attention_bwd.py:171:20
	s_ashr_i32 s7, s6, 31
	.loc	1 171 51                        ; attention_bwd.py:171:51
	s_wait_alu depctr_va_vcc(0)
	v_add_co_ci_u32_e64 v44, null, s5, v212, vcc_lo
	.loc	1 171 20                        ; attention_bwd.py:171:20
	s_add_nc_u64 s[4:5], s[38:39], s[8:9]
	.loc	1 171 38                        ; attention_bwd.py:171:38
	s_mul_i32 s12, s22, s10
	.loc	1 171 20                        ; attention_bwd.py:171:20
	s_wait_alu depctr_sa_sdst(0)
	s_lshl_b64 s[66:67], s[6:7], 1
	.loc	1 171 51                        ; attention_bwd.py:171:51
	v_add_co_u32 v45, vcc_lo, s4, v211
	.loc	1 171 20                        ; attention_bwd.py:171:20
	s_ashr_i32 s13, s12, 31
	.loc	1 171 51                        ; attention_bwd.py:171:51
	s_wait_alu depctr_va_vcc(0)
	v_add_co_ci_u32_e64 v46, null, s5, v212, vcc_lo
	.loc	1 171 20                        ; attention_bwd.py:171:20
	s_add_nc_u64 s[4:5], s[38:39], s[66:67]
	s_wait_alu depctr_sa_sdst(0)
	s_lshl_b64 s[12:13], s[12:13], 1
	.loc	1 171 51                        ; attention_bwd.py:171:51
	v_add_co_u32 v47, vcc_lo, s4, v211
	s_wait_alu depctr_va_vcc(0)
	v_add_co_ci_u32_e64 v48, null, s5, v212, vcc_lo
	.loc	1 171 20                        ; attention_bwd.py:171:20
	s_wait_alu depctr_sa_sdst(0)
	s_add_nc_u64 s[4:5], s[38:39], s[12:13]
	.loc	1 165 23 is_stmt 1              ; attention_bwd.py:165:23
	s_or_b32 s6, s104, 50
	.loc	1 171 51                        ; attention_bwd.py:171:51
	s_wait_alu depctr_sa_sdst(0)
	v_add_co_u32 v49, vcc_lo, s4, v211
	.loc	1 171 38 is_stmt 0              ; attention_bwd.py:171:38
	s_mul_i32 s4, s22, s6
	.loc	1 171 51                        ; attention_bwd.py:171:51
	s_wait_alu depctr_va_vcc(0)
	v_add_co_ci_u32_e64 v50, null, s5, v212, vcc_lo
	.loc	1 171 20                        ; attention_bwd.py:171:20
	s_wait_alu depctr_sa_sdst(0)
	s_ashr_i32 s5, s4, 31
.Ltmp6:
	.loc	1 38 23 is_stmt 1               ; attention_bwd.py:38:23 @[ attention_bwd.py:184:50 ]
	v_or_b32_e32 v0, s34, v183
.Ltmp7:
	.loc	1 171 20                        ; attention_bwd.py:171:20
	s_wait_alu depctr_sa_sdst(0)
	s_lshl_b64 s[6:7], s[4:5], 1
.Ltmp8:
	.loc	1 41 56                         ; attention_bwd.py:41:56 @[ attention_bwd.py:184:50 ]
	v_bfe_u32 v157, v237, 4, 4
.Ltmp9:
	.loc	1 171 20                        ; attention_bwd.py:171:20
	s_wait_alu depctr_sa_sdst(0)
	s_add_nc_u64 s[4:5], s[38:39], s[6:7]
	v_writelane_b32 v255, s60, 0
	.loc	1 171 51 is_stmt 0              ; attention_bwd.py:171:51
	s_wait_alu depctr_sa_sdst(0)
	v_add_co_u32 v51, vcc_lo, s4, v211
	.loc	1 165 23 is_stmt 1              ; attention_bwd.py:165:23
	s_or_b32 s4, s104, 52
	.loc	1 171 51                        ; attention_bwd.py:171:51
	s_wait_alu depctr_va_vcc(0)
	v_add_co_ci_u32_e64 v52, null, s5, v212, vcc_lo
	.loc	1 171 38 is_stmt 0              ; attention_bwd.py:171:38
	s_wait_alu depctr_sa_sdst(0)
	s_mul_i32 s4, s22, s4
.Ltmp10:
	.loc	1 41 36 is_stmt 1               ; attention_bwd.py:41:36 @[ attention_bwd.py:184:50 ]
	v_mul_lo_u32 v143, s22, v0
.Ltmp11:
	.loc	1 171 20                        ; attention_bwd.py:171:20
	s_wait_alu depctr_sa_sdst(0)
	s_ashr_i32 s5, s4, 31
.Ltmp12:
	.loc	1 41 56                         ; attention_bwd.py:41:56 @[ attention_bwd.py:184:50 ]
	v_or_b32_e32 v145, 16, v157
.Ltmp13:
	.loc	1 171 20                        ; attention_bwd.py:171:20
	s_wait_alu depctr_sa_sdst(0)
	s_lshl_b64 s[84:85], s[4:5], 1
.Ltmp14:
	.loc	1 41 56                         ; attention_bwd.py:41:56 @[ attention_bwd.py:184:50 ]
	v_or_b32_e32 v147, 32, v157
.Ltmp15:
	.loc	1 171 20                        ; attention_bwd.py:171:20
	s_add_nc_u64 s[4:5], s[38:39], s[84:85]
.Ltmp16:
	.loc	1 41 56                         ; attention_bwd.py:41:56 @[ attention_bwd.py:184:50 ]
	v_or_b32_e32 v149, 48, v157
.Ltmp17:
	.loc	1 171 51                        ; attention_bwd.py:171:51
	s_wait_alu depctr_sa_sdst(0)
	v_add_co_u32 v53, vcc_lo, s4, v211
	.loc	1 165 23                        ; attention_bwd.py:165:23
	s_or_b32 s4, s104, 54
	.loc	1 171 51                        ; attention_bwd.py:171:51
	s_wait_alu depctr_va_vcc(0)
	v_add_co_ci_u32_e64 v54, null, s5, v212, vcc_lo
	.loc	1 171 38 is_stmt 0              ; attention_bwd.py:171:38
	s_wait_alu depctr_sa_sdst(0)
	s_mul_i32 s4, s22, s4
.Ltmp18:
	.loc	1 41 18 is_stmt 1               ; attention_bwd.py:41:18 @[ attention_bwd.py:184:50 ]
	v_ashrrev_i32_e32 v144, 31, v143
.Ltmp19:
	.loc	1 171 20                        ; attention_bwd.py:171:20
	s_wait_alu depctr_sa_sdst(0)
	s_ashr_i32 s5, s4, 31
.Ltmp20:
	.loc	1 41 56                         ; attention_bwd.py:41:56 @[ attention_bwd.py:184:50 ]
	v_or_b32_e32 v151, 64, v157
.Ltmp21:
	.loc	1 171 20                        ; attention_bwd.py:171:20
	s_wait_alu depctr_sa_sdst(0)
	s_lshl_b64 s[86:87], s[4:5], 1
.Ltmp22:
	.loc	1 41 56                         ; attention_bwd.py:41:56 @[ attention_bwd.py:184:50 ]
	v_or_b32_e32 v153, 0x50, v157
.Ltmp23:
	.loc	1 171 20                        ; attention_bwd.py:171:20
	s_add_nc_u64 s[4:5], s[38:39], s[86:87]
.Ltmp24:
	.loc	1 41 18                         ; attention_bwd.py:41:18 @[ attention_bwd.py:184:50 ]
	v_lshlrev_b64_e32 v[209:210], 1, v[143:144]
.Ltmp25:
	.loc	1 171 51                        ; attention_bwd.py:171:51
	s_wait_alu depctr_sa_sdst(0)
	v_add_co_u32 v55, vcc_lo, s4, v211
	.loc	1 165 23                        ; attention_bwd.py:165:23
	s_or_b32 s4, s104, 56
	.loc	1 171 51                        ; attention_bwd.py:171:51
	s_wait_alu depctr_va_vcc(0)
	v_add_co_ci_u32_e64 v56, null, s5, v212, vcc_lo
	.loc	1 171 38 is_stmt 0              ; attention_bwd.py:171:38
	s_wait_alu depctr_sa_sdst(0)
	s_mul_i32 s4, s22, s4
.Ltmp26:
	.loc	1 41 67 is_stmt 1               ; attention_bwd.py:41:67 @[ attention_bwd.py:184:50 ]
	v_mul_lo_u32 v143, s23, v157
.Ltmp27:
	.loc	1 171 20                        ; attention_bwd.py:171:20
	s_wait_alu depctr_sa_sdst(0)
	s_ashr_i32 s5, s4, 31
.Ltmp28:
	.loc	1 41 56                         ; attention_bwd.py:41:56 @[ attention_bwd.py:184:50 ]
	v_or_b32_e32 v155, 0x60, v157
.Ltmp29:
	.loc	1 171 20                        ; attention_bwd.py:171:20
	s_wait_alu depctr_sa_sdst(0)
	s_lshl_b64 s[88:89], s[4:5], 1
.Ltmp30:
	.loc	1 41 56                         ; attention_bwd.py:41:56 @[ attention_bwd.py:184:50 ]
	v_or_b32_e32 v157, 0x70, v157
.Ltmp31:
	.loc	1 171 20                        ; attention_bwd.py:171:20
	s_add_nc_u64 s[4:5], s[38:39], s[88:89]
.Ltmp32:
	.loc	1 41 67                         ; attention_bwd.py:41:67 @[ attention_bwd.py:184:50 ]
	v_mul_lo_u32 v145, s23, v145
.Ltmp33:
	.loc	1 171 51                        ; attention_bwd.py:171:51
	s_wait_alu depctr_sa_sdst(0)
	v_add_co_u32 v57, vcc_lo, s4, v211
	.loc	1 165 23                        ; attention_bwd.py:165:23
	s_or_b32 s4, s104, 58
	.loc	1 171 51                        ; attention_bwd.py:171:51
	s_wait_alu depctr_va_vcc(0)
	v_add_co_ci_u32_e64 v58, null, s5, v212, vcc_lo
	.loc	1 171 38 is_stmt 0              ; attention_bwd.py:171:38
	s_wait_alu depctr_sa_sdst(0)
	s_mul_i32 s4, s22, s4
.Ltmp34:
	.loc	1 41 67 is_stmt 1               ; attention_bwd.py:41:67 @[ attention_bwd.py:184:50 ]
	v_mul_lo_u32 v147, s23, v147
.Ltmp35:
	.loc	1 171 20                        ; attention_bwd.py:171:20
	s_wait_alu depctr_sa_sdst(0)
	s_ashr_i32 s5, s4, 31
.Ltmp36:
	.loc	1 41 67                         ; attention_bwd.py:41:67 @[ attention_bwd.py:184:50 ]
	v_mul_lo_u32 v149, s23, v149
.Ltmp37:
	.loc	1 171 20                        ; attention_bwd.py:171:20
	s_wait_alu depctr_sa_sdst(0)
	s_lshl_b64 s[90:91], s[4:5], 1
.Ltmp38:
	.loc	1 41 67                         ; attention_bwd.py:41:67 @[ attention_bwd.py:184:50 ]
	v_mul_lo_u32 v151, s23, v151
.Ltmp39:
	.loc	1 171 20                        ; attention_bwd.py:171:20
	s_add_nc_u64 s[4:5], s[38:39], s[90:91]
.Ltmp40:
	.loc	1 41 67                         ; attention_bwd.py:41:67 @[ attention_bwd.py:184:50 ]
	v_mul_lo_u32 v153, s23, v153
.Ltmp41:
	.loc	1 171 51                        ; attention_bwd.py:171:51
	s_wait_alu depctr_sa_sdst(0)
	v_add_co_u32 v59, vcc_lo, s4, v211
	.loc	1 165 23                        ; attention_bwd.py:165:23
	s_or_b32 s4, s104, 60
.Ltmp42:
	.loc	1 41 67                         ; attention_bwd.py:41:67 @[ attention_bwd.py:184:50 ]
	v_mul_lo_u32 v155, s23, v155
.Ltmp43:
	.loc	1 171 38                        ; attention_bwd.py:171:38
	s_wait_alu depctr_sa_sdst(0)
	s_mul_i32 s4, s22, s4
.Ltmp44:
	.loc	1 41 67                         ; attention_bwd.py:41:67 @[ attention_bwd.py:184:50 ]
	v_mul_lo_u32 v157, s23, v157
.Ltmp45:
	.loc	1 171 51                        ; attention_bwd.py:171:51
	s_wait_alu depctr_va_vcc(0)
	v_add_co_ci_u32_e64 v60, null, s5, v212, vcc_lo
	.loc	1 171 20 is_stmt 0              ; attention_bwd.py:171:20
	s_wait_alu depctr_sa_sdst(0)
	s_ashr_i32 s5, s4, 31
.Ltmp46:
	.loc	1 41 49 is_stmt 1               ; attention_bwd.py:41:49 @[ attention_bwd.py:184:50 ]
	v_ashrrev_i32_e32 v144, 31, v143
.Ltmp47:
	.loc	1 171 20                        ; attention_bwd.py:171:20
	s_wait_alu depctr_sa_sdst(0)
	s_lshl_b64 s[96:97], s[4:5], 1
.Ltmp48:
	.loc	1 41 49                         ; attention_bwd.py:41:49 @[ attention_bwd.py:184:50 ]
	v_ashrrev_i32_e32 v146, 31, v145
.Ltmp49:
	.loc	1 171 20                        ; attention_bwd.py:171:20
	s_add_nc_u64 s[4:5], s[38:39], s[96:97]
.Ltmp50:
	.loc	1 41 49                         ; attention_bwd.py:41:49 @[ attention_bwd.py:184:50 ]
	v_ashrrev_i32_e32 v148, 31, v147
.Ltmp51:
	.loc	1 171 51                        ; attention_bwd.py:171:51
	s_wait_alu depctr_sa_sdst(0)
	v_add_co_u32 v61, vcc_lo, s4, v211
	.loc	1 165 23                        ; attention_bwd.py:165:23
	s_or_b32 s4, s104, 62
.Ltmp52:
	.loc	1 41 49                         ; attention_bwd.py:41:49 @[ attention_bwd.py:184:50 ]
	v_ashrrev_i32_e32 v150, 31, v149
	v_ashrrev_i32_e32 v152, 31, v151
	;; [unrolled: 1-line block ×5, first 2 shown]
.Ltmp53:
	.loc	1 171 38                        ; attention_bwd.py:171:38
	s_wait_alu depctr_sa_sdst(0)
	s_mul_i32 s4, s22, s4
	.loc	1 171 51 is_stmt 0              ; attention_bwd.py:171:51
	s_wait_alu depctr_va_vcc(0)
	v_add_co_ci_u32_e64 v62, null, s5, v212, vcc_lo
	.loc	1 171 20                        ; attention_bwd.py:171:20
	s_wait_alu depctr_sa_sdst(0)
	s_ashr_i32 s5, s4, 31
.Ltmp54:
	.loc	1 41 49 is_stmt 1               ; attention_bwd.py:41:49 @[ attention_bwd.py:184:50 ]
	v_lshlrev_b64_e32 v[205:206], 1, v[143:144]
	v_lshlrev_b64_e32 v[207:208], 1, v[145:146]
	;; [unrolled: 1-line block ×8, first 2 shown]
.Ltmp55:
	.loc	1 171 20                        ; attention_bwd.py:171:20
	s_wait_alu depctr_sa_sdst(0)
	s_lshl_b64 s[72:73], s[4:5], 1
	scratch_store_b64 off, v[201:202], off offset:1192 ; 8-byte Folded Spill
	s_add_nc_u64 s[4:5], s[38:39], s[72:73]
	s_clause 0x3                            ; 28-byte Folded Spill
	scratch_store_b64 off, v[194:195], off offset:1216
	scratch_store_b32 off, v132, off offset:1256
	scratch_store_b64 off, v[203:204], off offset:1208
	scratch_store_b64 off, v[207:208], off offset:1232
	.loc	1 171 51 is_stmt 0              ; attention_bwd.py:171:51
	s_wait_alu depctr_sa_sdst(0)
	v_add_co_u32 v63, vcc_lo, s4, v211
	s_clause 0x4                            ; 40-byte Folded Spill
	scratch_store_b64 off, v[185:186], off offset:1184
	scratch_store_b64 off, v[181:182], off offset:1176
	scratch_store_b64 off, v[192:193], off offset:1200
	scratch_store_b64 off, v[205:206], off offset:1224
	scratch_store_b64 off, v[209:210], off offset:1240
	s_wait_alu depctr_va_vcc(0)
	v_add_co_ci_u32_e64 v64, null, s5, v212, vcc_lo
	.loc	1 171 16                        ; attention_bwd.py:171:16
	s_clause 0x1f
	global_load_u16 v1, v[1:2], off
	global_load_u16 v2, v[3:4], off
	;; [unrolled: 1-line block ×32, first 2 shown]
	v_writelane_b32 v253, s48, 16
	v_writelane_b32 v255, s61, 1
	.loc	1 150 9 is_stmt 1               ; attention_bwd.py:150:9
	s_wait_kmcnt 0x0
	s_add_nc_u64 s[36:37], s[28:29], s[20:21]
.Ltmp56:
	.loc	1 51 24                         ; attention_bwd.py:51:24 @[ attention_bwd.py:184:50 ]
	s_ashr_i32 s35, s34, 31
.Ltmp57:
	.loc	1 172 20                        ; attention_bwd.py:172:20
	s_add_nc_u64 s[4:5], s[36:37], s[74:75]
	v_writelane_b32 v253, s49, 17
	v_writelane_b32 v255, s40, 2
	.loc	1 172 51 is_stmt 0              ; attention_bwd.py:172:51
	s_wait_alu depctr_sa_sdst(0)
	v_add_co_u32 v65, vcc_lo, s4, v211
	s_wait_alu depctr_va_vcc(0)
	v_add_co_ci_u32_e64 v66, null, s5, v212, vcc_lo
	.loc	1 172 20                        ; attention_bwd.py:172:20
	s_add_nc_u64 s[4:5], s[36:37], s[100:101]
	v_writelane_b32 v253, s44, 18
	.loc	1 172 51                        ; attention_bwd.py:172:51
	s_wait_alu depctr_sa_sdst(0)
	v_add_co_u32 v67, vcc_lo, s4, v211
	v_writelane_b32 v255, s41, 3
	s_wait_alu depctr_va_vcc(0)
	v_add_co_ci_u32_e64 v68, null, s5, v212, vcc_lo
	.loc	1 172 20                        ; attention_bwd.py:172:20
	s_add_nc_u64 s[4:5], s[36:37], s[68:69]
	v_writelane_b32 v253, s45, 19
	.loc	1 172 51                        ; attention_bwd.py:172:51
	s_wait_alu depctr_sa_sdst(0)
	v_add_co_u32 v69, vcc_lo, s4, v211
	v_writelane_b32 v255, s62, 4
	s_wait_alu depctr_va_vcc(0)
	v_add_co_ci_u32_e64 v70, null, s5, v212, vcc_lo
	.loc	1 172 20                        ; attention_bwd.py:172:20
	s_add_nc_u64 s[4:5], s[36:37], s[92:93]
	v_writelane_b32 v253, s50, 20
	.loc	1 172 51                        ; attention_bwd.py:172:51
	s_wait_alu depctr_sa_sdst(0)
	v_add_co_u32 v71, vcc_lo, s4, v211
	s_wait_alu depctr_va_vcc(0)
	v_add_co_ci_u32_e64 v72, null, s5, v212, vcc_lo
	.loc	1 172 20                        ; attention_bwd.py:172:20
	s_add_nc_u64 s[4:5], s[36:37], s[94:95]
	v_writelane_b32 v255, s63, 5
	.loc	1 172 51                        ; attention_bwd.py:172:51
	s_wait_alu depctr_sa_sdst(0)
	v_add_co_u32 v73, vcc_lo, s4, v211
	v_writelane_b32 v253, s51, 21
	s_wait_alu depctr_va_vcc(0)
	v_add_co_ci_u32_e64 v74, null, s5, v212, vcc_lo
	.loc	1 172 20                        ; attention_bwd.py:172:20
	s_add_nc_u64 s[4:5], s[36:37], s[98:99]
	v_writelane_b32 v255, s64, 6
	.loc	1 172 51                        ; attention_bwd.py:172:51
	s_wait_alu depctr_sa_sdst(0)
	v_add_co_u32 v75, vcc_lo, s4, v211
	s_wait_alu depctr_va_vcc(0)
	v_add_co_ci_u32_e64 v76, null, s5, v212, vcc_lo
	.loc	1 172 20                        ; attention_bwd.py:172:20
	s_add_nc_u64 s[4:5], s[36:37], s[70:71]
	v_writelane_b32 v253, s46, 22
	.loc	1 172 51                        ; attention_bwd.py:172:51
	s_wait_alu depctr_sa_sdst(0)
	v_add_co_u32 v77, vcc_lo, s4, v211
	v_writelane_b32 v255, s65, 7
	s_wait_alu depctr_va_vcc(0)
	v_add_co_ci_u32_e64 v78, null, s5, v212, vcc_lo
	.loc	1 172 20                        ; attention_bwd.py:172:20
	s_add_nc_u64 s[4:5], s[36:37], s[102:103]
	v_writelane_b32 v253, s47, 23
	.loc	1 172 51                        ; attention_bwd.py:172:51
	s_wait_alu depctr_sa_sdst(0)
	v_add_co_u32 v79, vcc_lo, s4, v211
	v_writelane_b32 v255, s14, 8
	s_wait_alu depctr_va_vcc(0)
	v_add_co_ci_u32_e64 v80, null, s5, v212, vcc_lo
	.loc	1 172 20                        ; attention_bwd.py:172:20
	s_add_nc_u64 s[4:5], s[36:37], s[82:83]
	v_writelane_b32 v253, s52, 24
	.loc	1 172 51                        ; attention_bwd.py:172:51
	s_wait_alu depctr_sa_sdst(0)
	v_add_co_u32 v81, vcc_lo, s4, v211
	s_wait_alu depctr_va_vcc(0)
	v_add_co_ci_u32_e64 v82, null, s5, v212, vcc_lo
	.loc	1 172 20                        ; attention_bwd.py:172:20
	s_add_nc_u64 s[4:5], s[36:37], s[48:49]
	v_writelane_b32 v255, s15, 9
	.loc	1 172 51                        ; attention_bwd.py:172:51
	s_wait_alu depctr_sa_sdst(0)
	v_add_co_u32 v83, vcc_lo, s4, v211
	v_writelane_b32 v253, s53, 25
	s_wait_alu depctr_va_vcc(0)
	v_add_co_ci_u32_e64 v84, null, s5, v212, vcc_lo
	.loc	1 172 20                        ; attention_bwd.py:172:20
	s_add_nc_u64 s[4:5], s[36:37], s[44:45]
	v_writelane_b32 v255, s8, 10
	.loc	1 172 51                        ; attention_bwd.py:172:51
	;; [unrolled: 43-line block ×3, first 2 shown]
	s_wait_alu depctr_sa_sdst(0)
	v_add_co_u32 v95, vcc_lo, s4, v211
	s_wait_alu depctr_va_vcc(0)
	v_add_co_ci_u32_e64 v96, null, s5, v212, vcc_lo
	v_writelane_b32 v253, s58, 30
	.loc	1 172 20                        ; attention_bwd.py:172:20
	s_add_nc_u64 s[4:5], s[36:37], s[58:59]
	v_writelane_b32 v255, s13, 15
	.loc	1 172 51                        ; attention_bwd.py:172:51
	s_wait_alu depctr_sa_sdst(0)
	v_add_co_u32 v97, vcc_lo, s4, v211
	s_wait_alu depctr_va_vcc(0)
	v_add_co_ci_u32_e64 v98, null, s5, v212, vcc_lo
	.loc	1 172 20                        ; attention_bwd.py:172:20
	s_add_nc_u64 s[4:5], s[36:37], s[60:61]
	v_writelane_b32 v255, s6, 16
	.loc	1 172 51                        ; attention_bwd.py:172:51
	s_wait_alu depctr_sa_sdst(0)
	v_add_co_u32 v99, vcc_lo, s4, v211
	s_wait_alu depctr_va_vcc(0)
	v_add_co_ci_u32_e64 v100, null, s5, v212, vcc_lo
	;; [unrolled: 8-line block ×13, first 2 shown]
	.loc	1 172 20                        ; attention_bwd.py:172:20
	s_add_nc_u64 s[4:5], s[36:37], s[90:91]
	s_load_b256 s[84:91], s[0:1], 0x20
	v_writelane_b32 v254, s68, 0
	.loc	1 172 51                        ; attention_bwd.py:172:51
	v_add_co_u32 v123, vcc_lo, s4, v211
	s_wait_alu depctr_va_vcc(0)
	v_add_co_ci_u32_e64 v124, null, s5, v212, vcc_lo
	.loc	1 172 20                        ; attention_bwd.py:172:20
	s_add_nc_u64 s[4:5], s[36:37], s[96:97]
	v_writelane_b32 v255, s72, 28
	v_writelane_b32 v254, s69, 1
	.loc	1 172 51                        ; attention_bwd.py:172:51
	s_wait_alu depctr_sa_sdst(0)
	v_add_co_u32 v125, vcc_lo, s4, v211
	s_wait_alu depctr_va_vcc(0)
	v_add_co_ci_u32_e64 v126, null, s5, v212, vcc_lo
	.loc	1 172 20                        ; attention_bwd.py:172:20
	s_add_nc_u64 s[4:5], s[36:37], s[72:73]
	v_writelane_b32 v255, s73, 29
	.loc	1 172 51                        ; attention_bwd.py:172:51
	s_wait_alu depctr_sa_sdst(0)
	v_add_co_u32 v127, vcc_lo, s4, v211
	v_writelane_b32 v254, s92, 2
	s_wait_alu depctr_va_vcc(0)
	v_add_co_ci_u32_e64 v128, null, s5, v212, vcc_lo
	.loc	1 151 10 is_stmt 1              ; attention_bwd.py:151:10
	s_wait_kmcnt 0x0
	s_add_nc_u64 s[8:9], s[84:85], s[20:21]
	v_writelane_b32 v255, s100, 30
.Ltmp58:
	.loc	1 42 19                         ; attention_bwd.py:42:19 @[ attention_bwd.py:184:50 ]
	s_wait_alu depctr_sa_sdst(0)
	s_add_nc_u64 s[0:1], s[8:9], s[74:75]
	v_writelane_b32 v254, s93, 3
	.loc	1 42 50 is_stmt 0               ; attention_bwd.py:42:50 @[ attention_bwd.py:184:50 ]
	v_add_co_u32 v165, vcc_lo, s0, v211
	s_wait_alu depctr_va_vcc(0)
	v_add_co_ci_u32_e64 v166, null, s1, v212, vcc_lo
	.loc	1 42 19                         ; attention_bwd.py:42:19 @[ attention_bwd.py:184:50 ]
	s_add_nc_u64 s[0:1], s[8:9], s[100:101]
	v_writelane_b32 v254, s94, 4
	.loc	1 42 50                         ; attention_bwd.py:42:50 @[ attention_bwd.py:184:50 ]
	s_wait_alu depctr_sa_sdst(0)
	v_add_co_u32 v167, vcc_lo, s0, v211
	s_wait_alu depctr_va_vcc(0)
	v_add_co_ci_u32_e64 v168, null, s1, v212, vcc_lo
	.loc	1 42 19                         ; attention_bwd.py:42:19 @[ attention_bwd.py:184:50 ]
	s_add_nc_u64 s[0:1], s[8:9], s[68:69]
	v_writelane_b32 v254, s95, 5
	.loc	1 42 50                         ; attention_bwd.py:42:50 @[ attention_bwd.py:184:50 ]
	s_wait_alu depctr_sa_sdst(0)
	;; [unrolled: 8-line block ×3, first 2 shown]
	v_add_co_u32 v171, vcc_lo, s0, v211
	s_wait_alu depctr_va_vcc(0)
	v_add_co_ci_u32_e64 v172, null, s1, v212, vcc_lo
	.loc	1 42 19                         ; attention_bwd.py:42:19 @[ attention_bwd.py:184:50 ]
	s_add_nc_u64 s[0:1], s[8:9], s[94:95]
	.loc	1 50 26 is_stmt 1               ; attention_bwd.py:50:26 @[ attention_bwd.py:184:50 ]
	v_or_b32_e32 v163, s34, v132
	.loc	1 42 50                         ; attention_bwd.py:42:50 @[ attention_bwd.py:184:50 ]
	s_wait_alu depctr_sa_sdst(0)
	v_add_co_u32 v173, vcc_lo, s0, v211
	s_wait_alu depctr_va_vcc(0)
	v_add_co_ci_u32_e64 v174, null, s1, v212, vcc_lo
	.loc	1 42 19 is_stmt 0               ; attention_bwd.py:42:19 @[ attention_bwd.py:184:50 ]
	s_add_nc_u64 s[0:1], s[8:9], s[98:99]
	.loc	1 47 25 is_stmt 1               ; attention_bwd.py:47:25 @[ attention_bwd.py:184:50 ]
	s_or_b32 s4, s104, 14
	.loc	1 42 50                         ; attention_bwd.py:42:50 @[ attention_bwd.py:184:50 ]
	s_wait_alu depctr_sa_sdst(0)
	v_add_co_u32 v175, vcc_lo, s0, v211
	s_wait_alu depctr_va_vcc(0)
	v_add_co_ci_u32_e64 v176, null, s1, v212, vcc_lo
	.loc	1 42 19 is_stmt 0               ; attention_bwd.py:42:19 @[ attention_bwd.py:184:50 ]
	s_add_nc_u64 s[0:1], s[8:9], s[70:71]
	.loc	1 51 24 is_stmt 1               ; attention_bwd.py:51:24 @[ attention_bwd.py:184:50 ]
	v_ashrrev_i32_e32 v164, 31, v163
	.loc	1 42 50                         ; attention_bwd.py:42:50 @[ attention_bwd.py:184:50 ]
	s_wait_alu depctr_sa_sdst(0)
	v_add_co_u32 v177, vcc_lo, s0, v211
	s_wait_alu depctr_va_vcc(0)
	v_add_co_ci_u32_e64 v178, null, s1, v212, vcc_lo
	.loc	1 42 19 is_stmt 0               ; attention_bwd.py:42:19 @[ attention_bwd.py:184:50 ]
	s_add_nc_u64 s[0:1], s[8:9], s[102:103]
	.loc	1 47 25 is_stmt 1               ; attention_bwd.py:47:25 @[ attention_bwd.py:184:50 ]
	s_mul_i32 s4, s22, s4
	.loc	1 42 50                         ; attention_bwd.py:42:50 @[ attention_bwd.py:184:50 ]
	s_wait_alu depctr_sa_sdst(0)
	v_add_co_u32 v179, vcc_lo, s0, v211
	s_wait_alu depctr_va_vcc(0)
	v_add_co_ci_u32_e64 v180, null, s1, v212, vcc_lo
.Ltmp59:
	.loc	1 155 9                         ; attention_bwd.py:155:9
	s_lshl_b64 s[0:1], s[2:3], 2
.Ltmp60:
	.loc	1 47 25                         ; attention_bwd.py:47:25 @[ attention_bwd.py:184:50 ]
	s_lshl_b64 s[2:3], s[34:35], 2
	s_ashr_i32 s5, s4, 31
	s_wait_alu depctr_sa_sdst(0)
	s_add_nc_u64 s[2:3], s[2:3], s[0:1]
	.loc	1 51 24                         ; attention_bwd.py:51:24 @[ attention_bwd.py:184:50 ]
	v_lshlrev_b64_e32 v[135:136], 2, v[163:164]
	.loc	1 47 25                         ; attention_bwd.py:47:25 @[ attention_bwd.py:184:50 ]
	s_wait_alu depctr_sa_sdst(0)
	v_add_co_u32 v133, s2, s2, v129
	s_wait_alu depctr_va_sdst(0)
	v_add_co_ci_u32_e64 v134, null, s3, 0, s2
	.loc	1 72 28                         ; attention_bwd.py:72:28 @[ attention_bwd.py:184:50 ]
	s_lshl_b32 s2, s22, 4
	v_mov_b32_e32 v164, s35
	s_wait_alu depctr_sa_sdst(0)
	s_ashr_i32 s3, s2, 31
	.loc	1 47 25                         ; attention_bwd.py:47:25 @[ attention_bwd.py:184:50 ]
	s_lshl_b64 s[4:5], s[4:5], 1
	s_wait_alu depctr_sa_sdst(0)
	s_lshl_b64 s[40:41], s[2:3], 1
.Ltmp61:
	.loc	1 155 9                         ; attention_bwd.py:155:9
	s_add_nc_u64 s[44:45], s[16:17], s[0:1]
.Ltmp62:
	.loc	1 47 25                         ; attention_bwd.py:47:25 @[ attention_bwd.py:184:50 ]
	s_wait_alu depctr_sa_sdst(0)
	s_add_nc_u64 s[2:3], s[84:85], s[40:41]
	.loc	1 51 24                         ; attention_bwd.py:51:24 @[ attention_bwd.py:184:50 ]
	v_lshlrev_b64_e32 v[139:140], 2, v[163:164]
	.loc	1 47 25                         ; attention_bwd.py:47:25 @[ attention_bwd.py:184:50 ]
	s_wait_alu depctr_sa_sdst(0)
	s_add_nc_u64 s[4:5], s[2:3], s[4:5]
.Ltmp63:
	.loc	1 156 9                         ; attention_bwd.py:156:9
	s_add_nc_u64 s[6:7], s[18:19], s[0:1]
.Ltmp64:
	.loc	1 47 25                         ; attention_bwd.py:47:25 @[ attention_bwd.py:184:50 ]
	s_wait_alu depctr_sa_sdst(0)
	v_add_co_u32 v129, vcc_lo, s4, v211
	s_wait_alu depctr_va_vcc(0)
	v_add_co_ci_u32_e64 v130, null, s5, v212, vcc_lo
	.loc	1 51 24                         ; attention_bwd.py:51:24 @[ attention_bwd.py:184:50 ]
	v_add_co_u32 v137, vcc_lo, s44, v135
	s_wait_alu depctr_va_vcc(0)
	v_add_co_ci_u32_e64 v138, null, s45, v136, vcc_lo
	.loc	1 64 25                         ; attention_bwd.py:64:25 @[ attention_bwd.py:184:50 ]
	;; [unrolled: 4-line block ×4, first 2 shown]
	v_add_co_u32 v139, vcc_lo, s6, v139
.Ltmp65:
	.loc	1 148 9                         ; attention_bwd.py:148:9
	s_add_nc_u64 s[62:63], s[24:25], s[20:21]
.Ltmp66:
	.loc	1 64 25                         ; attention_bwd.py:64:25 @[ attention_bwd.py:184:50 ]
	s_wait_alu depctr_va_vcc(0)
	v_add_co_ci_u32_e64 v140, null, s7, v140, vcc_lo
	.loc	1 41 18                         ; attention_bwd.py:41:18 @[ attention_bwd.py:184:50 ]
	s_wait_alu depctr_sa_sdst(0)
	v_add_co_u32 v0, vcc_lo, s62, v209
	s_wait_alu depctr_va_vcc(0)
	v_add_co_ci_u32_e64 v132, null, s63, v210, vcc_lo
.Ltmp67:
	.loc	1 165 36                        ; attention_bwd.py:165:36
	s_bfe_i32 s0, s42, 0x10002
.Ltmp68:
	.loc	1 41 49                         ; attention_bwd.py:41:49 @[ attention_bwd.py:184:50 ]
	v_add_co_u32 v143, vcc_lo, v0, v205
	s_wait_alu depctr_va_vcc(0)
	v_add_co_ci_u32_e64 v144, null, v132, v206, vcc_lo
	v_add_co_u32 v145, vcc_lo, v0, v207
	s_wait_alu depctr_va_vcc(0)
	v_add_co_ci_u32_e64 v146, null, v132, v208, vcc_lo
	;; [unrolled: 3-line block ×7, first 2 shown]
	v_add_co_u32 v157, vcc_lo, v0, v185
.Ltmp69:
	.loc	1 171 16                        ; attention_bwd.py:171:16
	v_lshlrev_b32_e32 v0, 1, v131
	s_wait_alu depctr_sa_sdst(0)
	s_and_b32 s0, s0, 0x110
	v_lshlrev_b32_e32 v131, 4, v183
	.loc	1 165 36                        ; attention_bwd.py:165:36
	s_and_b32 s10, s33, 0x60
.Ltmp70:
	.loc	1 41 49                         ; attention_bwd.py:41:49 @[ attention_bwd.py:184:50 ]
	s_wait_alu depctr_va_vcc(0)
	v_add_co_ci_u32_e64 v158, null, v132, v186, vcc_lo
.Ltmp71:
	.loc	1 171 16                        ; attention_bwd.py:171:16
	s_wait_alu depctr_sa_sdst(0)
	v_xor_b32_e32 v0, s0, v0
	v_xor_b32_e32 v131, v131, v188
	s_lshl_b32 s0, s10, 7
	v_writelane_b32 v255, s101, 31
	.loc	1 165 36                        ; attention_bwd.py:165:36
	s_and_b32 s101, s33, 0xc0
	.loc	1 171 16                        ; attention_bwd.py:171:16
	v_add_nc_u32_e32 v39, 0, v0
	s_wait_loadcnt 0x1f
	ds_store_b16 v39, v1
	s_wait_loadcnt 0x17
	ds_store_b16 v39, v9 offset:4096
	s_wait_loadcnt 0xf
	ds_store_b16 v39, v17 offset:8192
	v_xor_b32_e32 v1, 32, v0
	s_wait_alu depctr_sa_sdst(0)
	v_or3_b32 v160, s0, v131, v159
.Ltmp72:
	.loc	1 47 25                         ; attention_bwd.py:47:25 @[ attention_bwd.py:184:50 ]
	v_add_co_u32 v131, vcc_lo, s18, v133
	s_wait_alu depctr_va_vcc(0)
	v_add_co_ci_u32_e64 v132, null, s19, v134, vcc_lo
.Ltmp73:
	.loc	1 171 16                        ; attention_bwd.py:171:16
	v_add_nc_u32_e32 v40, 0, v1
	v_xor_b32_e32 v1, 64, v0
	s_wait_loadcnt 0x7
	ds_store_b16 v39, v25 offset:12288
	ds_store_b16 v40, v2 offset:512
	;; [unrolled: 1-line block ×4, first 2 shown]
	s_wait_loadcnt 0x6
	ds_store_b16 v40, v26 offset:12800
	v_xor_b32_e32 v33, 64, v160
	v_add_nc_u32_e32 v41, 0, v1
	v_xor_b32_e32 v1, 0x60, v0
	ds_store_b16 v41, v3 offset:1024
	ds_store_b16 v41, v11 offset:5120
	;; [unrolled: 1-line block ×3, first 2 shown]
	v_add_nc_u32_e32 v42, 0, v1
	v_xor_b32_e32 v1, 0x80, v0
	s_wait_loadcnt 0x5
	ds_store_b16 v41, v27 offset:13312
	ds_store_b16 v42, v4 offset:1536
	ds_store_b16 v42, v12 offset:5632
	ds_store_b16 v42, v20 offset:9728
	s_wait_loadcnt 0x4
	ds_store_b16 v42, v28 offset:13824
	v_xor_b32_e32 v34, 0x60, v160
	v_add_nc_u32_e32 v43, 0, v1
	v_xor_b32_e32 v1, 0xa0, v0
	ds_store_b16 v43, v5 offset:2048
	ds_store_b16 v43, v13 offset:6144
	;; [unrolled: 1-line block ×3, first 2 shown]
	v_add_nc_u32_e32 v44, 0, v1
	v_xor_b32_e32 v1, 0xc0, v0
	v_xor_b32_e32 v0, 0xe0, v0
	s_wait_loadcnt 0x3
	ds_store_b16 v43, v29 offset:14336
	ds_store_b16 v44, v6 offset:2560
	;; [unrolled: 1-line block ×4, first 2 shown]
	s_wait_loadcnt 0x2
	ds_store_b16 v44, v30 offset:14848
	v_xor_b32_e32 v35, 0x80, v160
	v_add_nc_u32_e32 v45, 0, v1
	v_add_nc_u32_e32 v46, 0, v0
	ds_store_b16 v45, v7 offset:3072
	ds_store_b16 v45, v15 offset:7168
	;; [unrolled: 1-line block ×3, first 2 shown]
	s_wait_loadcnt 0x1
	ds_store_b16 v45, v31 offset:15360
	ds_store_b16 v46, v8 offset:3584
	;; [unrolled: 1-line block ×4, first 2 shown]
	s_wait_loadcnt 0x0
	ds_store_b16 v46, v32 offset:15872
	v_xor_b32_e32 v32, 32, v160
	v_add_nc_u32_e32 v47, 0, v160
	v_xor_b32_e32 v36, 0xa0, v160
	v_xor_b32_e32 v37, 0xc0, v160
	v_xor_b32_e32 v38, 0xe0, v160
	v_add_nc_u32_e32 v32, 0, v32
	v_add_nc_u32_e32 v33, 0, v33
	;; [unrolled: 1-line block ×7, first 2 shown]
.Ltmp74:
	.loc	1 47 25                         ; attention_bwd.py:47:25 @[ attention_bwd.py:184:50 ]
	v_add_co_u32 v133, vcc_lo, s16, v133
	s_wait_alu depctr_va_vcc(0)
	v_add_co_ci_u32_e64 v134, null, s17, v134, vcc_lo
	v_add_co_u32 v161, vcc_lo, v209, v185
	s_wait_alu depctr_va_vcc(0)
	v_add_co_ci_u32_e64 v162, null, v210, v186, vcc_lo
	s_and_b32 s0, s42, 1
	v_add_co_u32 v200, vcc_lo, v161, s40
	s_wait_alu depctr_va_vcc(0)
	v_add_co_ci_u32_e64 v198, null, s41, v162, vcc_lo
	v_add_co_u32 v161, vcc_lo, v209, v181
	s_wait_alu depctr_va_vcc(0)
	v_add_co_ci_u32_e64 v162, null, v210, v182, vcc_lo
	s_wait_alu depctr_sa_sdst(0)
	s_lshl_b32 s33, s0, 9
	v_add_co_u32 v199, vcc_lo, v161, s40
	s_wait_alu depctr_va_vcc(0)
	v_add_co_ci_u32_e64 v196, null, s41, v162, vcc_lo
	v_add_co_u32 v161, vcc_lo, v209, v194
	s_wait_alu depctr_va_vcc(0)
	v_add_co_ci_u32_e64 v162, null, v210, v195, vcc_lo
	s_lshl_b32 s14, s0, 5
	v_add_co_u32 v197, vcc_lo, v161, s40
	s_wait_alu depctr_va_vcc(0)
	v_add_co_ci_u32_e64 v194, null, s41, v162, vcc_lo
	v_add_co_u32 v161, vcc_lo, v209, v203
	s_wait_alu depctr_va_vcc(0)
	v_add_co_ci_u32_e64 v162, null, v210, v204, vcc_lo
	s_or_b32 s0, s104, 12
	v_add_co_u32 v195, vcc_lo, v161, s40
	s_wait_alu depctr_va_vcc(0)
	v_add_co_ci_u32_e64 v191, null, s41, v162, vcc_lo
	v_add_co_u32 v161, vcc_lo, v209, v192
	s_wait_alu depctr_va_vcc(0)
	v_add_co_ci_u32_e64 v162, null, v210, v193, vcc_lo
	s_wait_alu depctr_sa_sdst(0)
	s_mul_i32 s0, s22, s0
	v_add_co_u32 v192, vcc_lo, v161, s40
	s_wait_alu depctr_va_vcc(0)
	v_add_co_ci_u32_e64 v186, null, s41, v162, vcc_lo
	v_add_co_u32 v161, vcc_lo, v209, v201
	s_wait_alu depctr_va_vcc(0)
	v_add_co_ci_u32_e64 v162, null, v210, v202, vcc_lo
	s_or_b32 s4, s104, 10
	v_add_co_u32 v187, vcc_lo, v161, s40
	s_wait_alu depctr_va_vcc(0)
	v_add_co_ci_u32_e64 v182, null, s41, v162, vcc_lo
	v_add_co_u32 v161, vcc_lo, v209, v207
	s_wait_alu depctr_va_vcc(0)
	v_add_co_ci_u32_e64 v162, null, v210, v208, vcc_lo
	s_add_co_i32 s35, s33, 0
	v_add_co_u32 v185, vcc_lo, v161, s40
	s_wait_alu depctr_va_vcc(0)
	v_add_co_ci_u32_e64 v164, null, s41, v162, vcc_lo
	v_add_co_u32 v161, vcc_lo, v209, v205
	s_wait_alu depctr_va_vcc(0)
	v_add_co_ci_u32_e64 v162, null, v210, v206, vcc_lo
	s_wait_alu depctr_sa_sdst(0)
	s_ashr_i32 s1, s0, 31
	s_mul_i32 s4, s22, s4
	s_or_b32 s12, s104, 8
	s_wait_alu depctr_sa_sdst(0)
	s_ashr_i32 s5, s4, 31
	s_mul_i32 s12, s22, s12
	s_or_b32 s15, s104, 6
	s_lshl_b64 s[0:1], s[0:1], 1
	v_add_co_u32 v181, vcc_lo, v161, s40
	s_wait_alu depctr_sa_sdst(0)
	s_ashr_i32 s13, s12, 31
	s_mul_i32 s16, s22, s15
	s_or_b32 s15, s104, 4
	s_lshl_b64 s[4:5], s[4:5], 1
	s_add_nc_u64 s[0:1], s[2:3], s[0:1]
	s_wait_alu depctr_va_vcc(0)
	v_add_co_ci_u32_e64 v161, null, s41, v162, vcc_lo
	s_wait_alu depctr_sa_sdst(0)
	s_ashr_i32 s17, s16, 31
	s_mul_i32 s18, s22, s15
	s_or_b32 s15, s104, 2
	s_lshl_b64 s[12:13], s[12:13], 1
	s_add_nc_u64 s[4:5], s[2:3], s[4:5]
	s_wait_alu depctr_sa_sdst(0)
	s_ashr_i32 s19, s18, 31
	s_mul_i32 s46, s22, s15
	s_lshl_b64 s[16:17], s[16:17], 1
	s_add_nc_u64 s[48:49], s[2:3], s[12:13]
	s_wait_alu depctr_sa_sdst(0)
	s_ashr_i32 s47, s46, 31
	s_lshl_b64 s[18:19], s[18:19], 1
	s_add_nc_u64 s[16:17], s[2:3], s[16:17]
	v_writelane_b32 v254, s99, 7
	s_wait_alu depctr_sa_sdst(0)
	s_lshl_b64 s[46:47], s[46:47], 1
	s_add_nc_u64 s[18:19], s[2:3], s[18:19]
	s_wait_alu depctr_sa_sdst(0)
	s_add_nc_u64 s[46:47], s[2:3], s[46:47]
.Ltmp75:
	.loc	1 165 36                        ; attention_bwd.py:165:36
	s_lshr_b32 s43, s10, 1
	v_writelane_b32 v254, s74, 8
.Ltmp76:
	.loc	1 47 25                         ; attention_bwd.py:47:25 @[ attention_bwd.py:184:50 ]
	s_add_nc_u64 s[2:3], s[2:3], s[74:75]
	v_writelane_b32 v253, s59, 31
	s_mov_b64 s[98:99], s[70:71]
	s_lshr_b32 s15, s101, 1
	v_writelane_b32 v254, s75, 9
	s_mov_b64 s[12:13], 0
.Ltmp77:
	.loc	1 171 16                        ; attention_bwd.py:171:16
	s_wait_storecnt_dscnt 0x0
	s_barrier_signal -1
	s_barrier_wait -1
	global_inv scope:SCOPE_SE
	.loc	1 172 16                        ; attention_bwd.py:172:16
	s_clause 0x1f
	global_load_u16 v0, v[65:66], off
	global_load_u16 v1, v[67:68], off
	;; [unrolled: 1-line block ×32, first 2 shown]
	.loc	1 171 16                        ; attention_bwd.py:171:16
	ds_load_b128 v[246:249], v47
	ds_load_b128 v[242:245], v32
	;; [unrolled: 1-line block ×8, first 2 shown]
.Ltmp78:
	.loc	1 47 25                         ; attention_bwd.py:47:25 @[ attention_bwd.py:184:50 ]
	v_or_b32_e32 v110, 7, v163
.Ltmp79:
	.loc	1 172 16                        ; attention_bwd.py:172:16
	s_wait_loadcnt_dscnt 0x0
	s_barrier_signal -1
	s_barrier_wait -1
	global_inv scope:SCOPE_SE
	ds_store_b16 v39, v0
	ds_store_b16 v39, v8 offset:4096
	ds_store_b16 v39, v16 offset:8192
	s_clause 0x7                            ; 32-byte Folded Spill
	scratch_store_b32 off, v39, off offset:1112
	scratch_store_b32 off, v40, off offset:1116
	;; [unrolled: 1-line block ×8, first 2 shown]
	ds_store_b16 v39, v24 offset:12288
	ds_store_b16 v40, v1 offset:512
	;; [unrolled: 1-line block ×29, first 2 shown]
	s_wait_storecnt 0x0
	s_wait_loadcnt_dscnt 0x0
	s_barrier_signal -1
	s_barrier_wait -1
	global_inv scope:SCOPE_SE
.Ltmp80:
	.loc	1 51 20                         ; attention_bwd.py:51:20 @[ attention_bwd.py:184:50 ]
	s_clause 0x2
	global_load_b32 v64, v[137:138], off
	global_load_b128 v[65:68], v[141:142], off offset:4
	global_load_b96 v[69:71], v[141:142], off offset:20
	.loc	1 64 21                         ; attention_bwd.py:64:21 @[ attention_bwd.py:184:50 ]
	s_clause 0x2
	global_load_b32 v72, v[135:136], off
	global_load_b128 v[73:76], v[139:140], off offset:4
	global_load_b96 v[77:79], v[139:140], off offset:20
	.loc	1 48 21                         ; attention_bwd.py:48:21 @[ attention_bwd.py:184:50 ]
	s_clause 0x7
	global_load_u16 v0, v[143:144], off
	global_load_u16 v1, v[145:146], off
	;; [unrolled: 1-line block ×8, first 2 shown]
	s_clause 0x1                            ; 8-byte Folded Spill
	scratch_store_b32 off, v47, off offset:1144
	scratch_store_b32 off, v32, off offset:1148
.Ltmp81:
	.loc	1 172 16                        ; attention_bwd.py:172:16
	ds_load_b128 v[144:147], v32
	ds_load_b128 v[213:216], v33
.Ltmp82:
	.loc	1 51 24                         ; attention_bwd.py:51:24 @[ attention_bwd.py:184:50 ]
	v_mov_b32_e32 v32, 0
	s_clause 0x3                            ; 32-byte Folded Spill
	scratch_store_b64 off, v[165:166], off offset:984
	scratch_store_b64 off, v[167:168], off offset:992
	;; [unrolled: 1-line block ×4, first 2 shown]
	.loc	1 58 21                         ; attention_bwd.py:58:21 @[ attention_bwd.py:184:50 ]
	s_clause 0x7
	global_load_u16 v8, v[165:166], off
	global_load_u16 v9, v[167:168], off
	global_load_u16 v10, v[169:170], off
	global_load_u16 v11, v[171:172], off
	global_load_u16 v12, v[173:174], off
	global_load_u16 v13, v[175:176], off
	global_load_u16 v14, v[177:178], off
	global_load_u16 v15, v[179:180], off
	s_clause 0x3                            ; 32-byte Folded Spill
	scratch_store_b64 off, v[173:174], off offset:1016
	scratch_store_b64 off, v[175:176], off offset:1024
	;; [unrolled: 1-line block ×4, first 2 shown]
.Ltmp83:
	.loc	1 172 16                        ; attention_bwd.py:172:16
	ds_load_b128 v[205:208], v38
	v_mov_b32_e32 v43, v32
	ds_load_b128 v[176:179], v34
	v_mov_b32_e32 v45, v32
	ds_load_b128 v[84:87], v36
	v_mov_b32_e32 v46, v32
	ds_load_b128 v[172:175], v47
	v_mov_b32_e32 v50, v32
	ds_load_b128 v[88:91], v35
	v_mov_b32_e32 v52, v32
	ds_load_b128 v[17:20], v37
	s_clause 0x2                            ; 12-byte Folded Spill
	scratch_store_b32 off, v34, off offset:1156
	scratch_store_b32 off, v35, off offset:1160
	;; [unrolled: 1-line block ×3, first 2 shown]
	v_mov_b32_e32 v47, v32
	s_clause 0x1                            ; 8-byte Folded Spill
	scratch_store_b32 off, v37, off offset:1168
	scratch_store_b32 off, v38, off offset:1172
	v_mov_b32_e32 v48, v32
	scratch_store_b32 off, v33, off offset:1152 ; 4-byte Folded Spill
	v_dual_mov_b32 v49, v32 :: v_dual_lshlrev_b32 v16, 1, v237
	v_mov_b32_e32 v51, v32
	v_lshl_add_u32 v82, v183, 5, s35
	s_delay_alu instid0(VALU_DEP_3) | instskip(SKIP_3) | instid1(VALU_DEP_4)
	v_dual_mov_b32 v53, v32 :: v_dual_and_b32 v16, 0x1fe, v16
	v_mov_b32_e32 v36, v32
	v_dual_mov_b32 v153, v32 :: v_dual_add_nc_u32 v80, 0, v159
	v_lshlrev_b32_e32 v96, 1, v183
	v_dual_mov_b32 v33, v32 :: v_dual_add_nc_u32 v252, 0, v16
	v_dual_mov_b32 v34, v32 :: v_dual_mov_b32 v35, v32
	v_dual_mov_b32 v37, v32 :: v_dual_mov_b32 v38, v32
	;; [unrolled: 1-line block ×4, first 2 shown]
	v_mov_b32_e32 v44, v32
	v_dual_mov_b32 v54, v32 :: v_dual_mov_b32 v55, v32
	v_dual_mov_b32 v56, v32 :: v_dual_mov_b32 v57, v32
	;; [unrolled: 1-line block ×12, first 2 shown]
	v_mov_b32_e32 v16, v32
.Ltmp84:
	.loc	1 48 21                         ; attention_bwd.py:48:21 @[ attention_bwd.py:184:50 ]
	s_wait_storecnt 0x0
	s_wait_loadcnt_dscnt 0x0
	s_barrier_signal -1
	s_barrier_wait -1
	global_inv scope:SCOPE_SE
	ds_store_b16 v252, v0
	ds_store_b16 v252, v1 offset:512
	ds_store_b16 v252, v2 offset:1024
	;; [unrolled: 1-line block ×7, first 2 shown]
	.loc	1 58 21                         ; attention_bwd.py:58:21 @[ attention_bwd.py:184:50 ]
	ds_store_b16 v252, v8 offset:4096
	ds_store_b16 v252, v9 offset:4608
	;; [unrolled: 1-line block ×5, first 2 shown]
	v_mov_b32_e32 v9, v17
	v_mov_b32_e32 v11, v19
	v_add_nc_u32_e32 v193, v82, v188
	.loc	1 47 25                         ; attention_bwd.py:47:25 @[ attention_bwd.py:184:50 ]
	v_add_co_u32 v82, vcc_lo, s0, v211
	s_wait_alu depctr_va_vcc(0)
	v_add_co_ci_u32_e64 v83, null, s1, v212, vcc_lo
	v_add_co_u32 v111, vcc_lo, s4, v211
	s_wait_alu depctr_va_vcc(0)
	v_add_co_ci_u32_e64 v112, null, s5, v212, vcc_lo
	v_add_co_u32 v113, vcc_lo, s48, v211
	s_wait_alu depctr_va_vcc(0)
	v_add_co_ci_u32_e64 v114, null, s49, v212, vcc_lo
	v_add_co_u32 v115, vcc_lo, s16, v211
	s_wait_alu depctr_va_vcc(0)
	v_add_co_ci_u32_e64 v116, null, s17, v212, vcc_lo
	v_add_co_u32 v117, vcc_lo, s18, v211
	s_wait_alu depctr_va_vcc(0)
	v_add_co_ci_u32_e64 v118, null, s19, v212, vcc_lo
	s_wait_alu depctr_sa_sdst(0)
	v_add_co_u32 v119, vcc_lo, s46, v211
	s_wait_alu depctr_va_vcc(0)
	v_add_co_ci_u32_e64 v120, null, s47, v212, vcc_lo
	v_add_co_u32 v121, vcc_lo, s2, v211
	s_wait_alu depctr_va_vcc(0)
	v_add_co_ci_u32_e64 v122, null, s3, v212, vcc_lo
	v_add_co_u32 v123, vcc_lo, s24, v181
	v_dual_mov_b32 v156, v32 :: v_dual_lshlrev_b32 v109, 6, v188
	s_wait_alu depctr_va_vcc(0)
	v_add_co_ci_u32_e64 v124, null, s25, v161, vcc_lo
	v_add_co_u32 v125, vcc_lo, s24, v200
	s_wait_alu depctr_va_vcc(0)
	v_add_co_ci_u32_e64 v126, null, s25, v198, vcc_lo
	v_add_co_u32 v127, vcc_lo, s24, v199
	v_mov_b32_e32 v10, v18
	v_mov_b32_e32 v12, v20
	.loc	1 58 21                         ; attention_bwd.py:58:21 @[ attention_bwd.py:184:50 ]
	ds_store_b16 v252, v13 offset:6656
	ds_store_b16 v252, v14 offset:7168
	;; [unrolled: 1-line block ×3, first 2 shown]
	v_dual_mov_b32 v13, v32 :: v_dual_mov_b32 v14, v32
	v_mov_b32_e32 v15, v32
	v_dual_mov_b32 v17, v32 :: v_dual_mov_b32 v18, v32
	v_dual_mov_b32 v19, v32 :: v_dual_mov_b32 v20, v32
	v_dual_mov_b32 v0, v163 :: v_dual_add_nc_u32 v81, 0, v109
	.loc	1 47 25                         ; attention_bwd.py:47:25 @[ attention_bwd.py:184:50 ]
	s_wait_alu depctr_va_vcc(0)
	v_add_co_ci_u32_e64 v128, null, s25, v196, vcc_lo
	v_add_co_u32 v135, vcc_lo, s24, v197
	s_wait_alu depctr_va_vcc(0)
	v_add_co_ci_u32_e64 v136, null, s25, v194, vcc_lo
	v_add_co_u32 v137, vcc_lo, s24, v195
	s_clause 0x1                            ; 32-byte Folded Spill
	scratch_store_b128 off, v[13:16], off
	scratch_store_b128 off, v[17:20], off offset:16
	s_wait_alu depctr_va_vcc(0)
	v_add_co_ci_u32_e64 v138, null, s25, v191, vcc_lo
	v_add_co_u32 v139, vcc_lo, s24, v192
	v_dual_mov_b32 v1, v32 :: v_dual_mov_b32 v2, v32
	v_add_nc_u32_e32 v204, v80, v188
	v_dual_mov_b32 v15, v183 :: v_dual_lshlrev_b32 v14, 4, v188
	v_add_nc_u32_e32 v80, v81, v96
	v_add3_u32 v81, v81, v109, s14
	s_wait_alu depctr_va_vcc(0)
	v_add_co_ci_u32_e64 v140, null, s25, v186, vcc_lo
	v_add_co_u32 v141, vcc_lo, s24, v187
	s_wait_alu depctr_va_vcc(0)
	v_add_co_ci_u32_e64 v142, null, s25, v182, vcc_lo
	v_add_co_u32 v143, vcc_lo, s24, v185
	s_clause 0x7                            ; 32-byte Folded Spill
	scratch_store_b32 off, v197, off offset:1096
	scratch_store_b32 off, v195, off offset:1088
	;; [unrolled: 1-line block ×8, first 2 shown]
	v_dual_mov_b32 v197, v87 :: v_dual_mov_b32 v192, v91
	v_dual_mov_b32 v3, v32 :: v_dual_mov_b32 v4, v32
	;; [unrolled: 1-line block ×4, first 2 shown]
	v_dual_mov_b32 v196, v86 :: v_dual_add_nc_u32 v81, v81, v96
	s_clause 0x7                            ; 36-byte Folded Spill
	scratch_store_b64 off, v[0:1], off offset:968
	scratch_store_b32 off, v161, off offset:1048
	scratch_store_b32 off, v181, off offset:1056
	scratch_store_b32 off, v187, off offset:1072
	scratch_store_b32 off, v182, off offset:1060
	scratch_store_b32 off, v186, off offset:1068
	scratch_store_b32 off, v185, off offset:1064
	scratch_store_b32 off, v164, off offset:1052
	v_dual_mov_b32 v195, v85 :: v_dual_mov_b32 v194, v84
	v_dual_mov_b32 v191, v90 :: v_dual_mov_b32 v190, v89
	v_mov_b32_e32 v189, v88
	v_add3_u32 v201, 0, v14, v96
	s_wait_alu depctr_va_vcc(0)
	v_add_co_ci_u32_e64 v148, null, s25, v164, vcc_lo
.Ltmp85:
	.loc	1 165 23                        ; attention_bwd.py:165:23
	v_or3_b32 v0, v15, s43, s34
	s_clause 0x5                            ; 84-byte Folded Spill
	scratch_store_b32 off, v200, off offset:1108
	scratch_store_b128 off, v[176:179], off offset:32
	scratch_store_b128 off, v[213:216], off offset:48
	;; [unrolled: 1-line block ×5, first 2 shown]
.LBB0_1:                                ; =>This Inner Loop Header: Depth=1
	.loc	1 0 23 is_stmt 0                ; attention_bwd.py:0:23
	v_dual_mov_b32 v101, v72 :: v_dual_mov_b32 v102, v73
.Ltmp86:
	.loc	1 72 19 is_stmt 1               ; attention_bwd.py:72:19 @[ attention_bwd.py:184:50 ]
	v_add_co_u32 v72, vcc_lo, v123, s20
	s_wait_alu depctr_va_vcc(0)
	v_add_co_ci_u32_e64 v73, null, s21, v124, vcc_lo
	v_dual_mov_b32 v103, v74 :: v_dual_mov_b32 v104, v75
	v_dual_mov_b32 v105, v76 :: v_dual_mov_b32 v106, v77
	.loc	1 48 21                         ; attention_bwd.py:48:21 @[ attention_bwd.py:184:50 ]
	global_load_u16 v84, v[72:73], off
	.loc	1 72 19                         ; attention_bwd.py:72:19 @[ attention_bwd.py:184:50 ]
	v_add_co_u32 v72, vcc_lo, v143, s20
	s_wait_alu depctr_va_vcc(0)
	v_add_co_ci_u32_e64 v73, null, s21, v148, vcc_lo
	v_dual_mov_b32 v107, v78 :: v_dual_mov_b32 v108, v79
	.loc	1 61 21                         ; attention_bwd.py:61:21 @[ attention_bwd.py:184:50 ]
	v_add_nc_u32_e32 v182, s15, v80
	.loc	1 48 21                         ; attention_bwd.py:48:21 @[ attention_bwd.py:184:50 ]
	global_load_u16 v85, v[72:73], off
	.loc	1 72 19                         ; attention_bwd.py:72:19 @[ attention_bwd.py:184:50 ]
	v_add_co_u32 v72, vcc_lo, v141, s20
	s_wait_alu depctr_va_vcc(0)
	v_add_co_ci_u32_e64 v73, null, s21, v142, vcc_lo
	.loc	1 48 21                         ; attention_bwd.py:48:21 @[ attention_bwd.py:184:50 ]
	global_load_u16 v86, v[72:73], off
	.loc	1 72 19                         ; attention_bwd.py:72:19 @[ attention_bwd.py:184:50 ]
	v_add_co_u32 v72, vcc_lo, v139, s20
	s_wait_alu depctr_va_vcc(0)
	v_add_co_ci_u32_e64 v73, null, s21, v140, vcc_lo
	;; [unrolled: 6-line block ×6, first 2 shown]
	.loc	1 48 21                         ; attention_bwd.py:48:21 @[ attention_bwd.py:184:50 ]
	global_load_u16 v91, v[72:73], off
	.loc	1 69 26                         ; attention_bwd.py:69:26 @[ attention_bwd.py:184:50 ]
	s_wait_storecnt 0x0
	s_wait_loadcnt_dscnt 0x0
	s_barrier_signal -1
	s_barrier_wait -1
	global_inv scope:SCOPE_SE
	.loc	1 66 24                         ; attention_bwd.py:66:24 @[ attention_bwd.py:184:50 ]
	ds_load_b128 v[92:95], v204 offset:4096
	ds_load_b128 v[97:100], v204 offset:4128
	s_wait_dscnt 0x1
	v_wmma_f32_16x16x16_f16 v[72:79], v[92:95], v[172:175], 0
	s_wait_dscnt 0x0
	s_delay_alu instid0(VALU_DEP_1)
	v_wmma_f32_16x16x16_f16 v[72:79], v[97:100], v[144:147], v[72:79]
	ds_load_b128 v[92:95], v204 offset:4160
	ds_load_b128 v[97:100], v204 offset:4192
	s_wait_dscnt 0x1
	v_wmma_f32_16x16x16_f16 v[72:79], v[92:95], v[213:216], v[72:79]
	s_wait_dscnt 0x0
	s_delay_alu instid0(VALU_DEP_1)
	v_wmma_f32_16x16x16_f16 v[72:79], v[97:100], v[176:179], v[72:79]
	;; [unrolled: 7-line block ×3, first 2 shown]
	ds_load_b128 v[92:95], v204 offset:4288
	ds_load_b128 v[97:100], v204 offset:4320
	s_wait_dscnt 0x1
	v_wmma_f32_16x16x16_f16 v[72:79], v[92:95], v[9:12], v[72:79]
	s_wait_dscnt 0x0
	s_delay_alu instid0(VALU_DEP_1) | instskip(NEXT) | instid1(VALU_DEP_1)
	v_wmma_f32_16x16x16_f16 v[72:79], v[97:100], v[205:208], v[72:79]
	.loc	1 67 26                         ; attention_bwd.py:67:26 @[ attention_bwd.py:184:50 ]
	v_dual_sub_f32 v92, v72, v101 :: v_dual_sub_f32 v93, v73, v102
	s_delay_alu instid0(VALU_DEP_2) | instskip(NEXT) | instid1(VALU_DEP_3)
	v_dual_sub_f32 v94, v74, v103 :: v_dual_sub_f32 v95, v75, v104
	v_dual_sub_f32 v97, v76, v105 :: v_dual_sub_f32 v98, v77, v106
	s_delay_alu instid0(VALU_DEP_4)
	v_dual_sub_f32 v99, v78, v107 :: v_dual_sub_f32 v100, v79, v108
	.loc	1 48 21                         ; attention_bwd.py:48:21 @[ attention_bwd.py:184:50 ]
	ds_load_u16 v72, v201
	ds_load_u16 v73, v201 offset:64
	ds_load_u16 v74, v201 offset:128
	ds_load_u16 v75, v201 offset:192
	ds_load_u16 v76, v201 offset:512
	ds_load_u16 v77, v201 offset:576
	ds_load_u16 v78, v201 offset:640
	ds_load_u16 v79, v201 offset:704
	s_wait_dscnt 0x7
	ds_load_u16_d16_hi v72, v201 offset:32
	s_wait_dscnt 0x7
	ds_load_u16_d16_hi v73, v201 offset:96
	;; [unrolled: 2-line block ×8, first 2 shown]
	v_dual_mov_b32 v101, v64 :: v_dual_mov_b32 v102, v65
	v_dual_mov_b32 v103, v66 :: v_dual_mov_b32 v104, v67
	;; [unrolled: 1-line block ×4, first 2 shown]
	.loc	1 52 24                         ; attention_bwd.py:52:24 @[ attention_bwd.py:184:50 ]
	s_wait_dscnt 0x4
	v_wmma_f32_16x16x16_f16 v[64:71], v[72:75], v[246:249], 0
	s_wait_dscnt 0x0
	s_delay_alu instid0(VALU_DEP_1)
	v_wmma_f32_16x16x16_f16 v[64:71], v[76:79], v[242:245], v[64:71]
	.loc	1 48 21                         ; attention_bwd.py:48:21 @[ attention_bwd.py:184:50 ]
	ds_load_u16 v72, v201 offset:1024
	ds_load_u16 v73, v201 offset:1088
	;; [unrolled: 1-line block ×8, first 2 shown]
	s_wait_dscnt 0x7
	ds_load_u16_d16_hi v72, v201 offset:1056
	s_wait_dscnt 0x7
	ds_load_u16_d16_hi v73, v201 offset:1120
	;; [unrolled: 2-line block ×8, first 2 shown]
	.loc	1 52 24                         ; attention_bwd.py:52:24 @[ attention_bwd.py:184:50 ]
	s_wait_dscnt 0x4
	v_wmma_f32_16x16x16_f16 v[64:71], v[72:75], v[238:241], v[64:71]
	s_wait_dscnt 0x0
	s_delay_alu instid0(VALU_DEP_1)
	v_wmma_f32_16x16x16_f16 v[64:71], v[76:79], v[233:236], v[64:71]
	.loc	1 48 21                         ; attention_bwd.py:48:21 @[ attention_bwd.py:184:50 ]
	ds_load_u16 v72, v201 offset:2048
	ds_load_u16 v73, v201 offset:2112
	;; [unrolled: 1-line block ×8, first 2 shown]
	s_wait_dscnt 0x7
	ds_load_u16_d16_hi v72, v201 offset:2080
	s_wait_dscnt 0x7
	ds_load_u16_d16_hi v73, v201 offset:2144
	;; [unrolled: 2-line block ×8, first 2 shown]
	.loc	1 52 24                         ; attention_bwd.py:52:24 @[ attention_bwd.py:184:50 ]
	s_wait_dscnt 0x4
	v_wmma_f32_16x16x16_f16 v[64:71], v[72:75], v[217:220], v[64:71]
	v_dual_mov_b32 v220, v156 :: v_dual_mov_b32 v217, v153
	v_mov_b32_e32 v215, v151
	v_mov_b32_e32 v213, v149
	s_wait_dscnt 0x0
	v_wmma_f32_16x16x16_f16 v[64:71], v[76:79], v[229:232], v[64:71]
	.loc	1 48 21                         ; attention_bwd.py:48:21 @[ attention_bwd.py:184:50 ]
	ds_load_u16 v72, v201 offset:3072
	ds_load_u16 v73, v201 offset:3136
	;; [unrolled: 1-line block ×8, first 2 shown]
	s_wait_dscnt 0x7
	ds_load_u16_d16_hi v72, v201 offset:3104
	s_wait_dscnt 0x7
	ds_load_u16_d16_hi v73, v201 offset:3168
	s_wait_dscnt 0x7
	ds_load_u16_d16_hi v74, v201 offset:3232
	s_wait_dscnt 0x7
	ds_load_u16_d16_hi v75, v201 offset:3296
	s_wait_dscnt 0x7
	ds_load_u16_d16_hi v76, v201 offset:3616
	s_wait_dscnt 0x7
	ds_load_u16_d16_hi v77, v201 offset:3680
	s_wait_dscnt 0x7
	ds_load_u16_d16_hi v78, v201 offset:3744
	s_wait_dscnt 0x7
	ds_load_u16_d16_hi v79, v201 offset:3808
	v_mov_b32_e32 v218, v154
	v_mov_b32_e32 v216, v152
	v_dual_mov_b32 v214, v150 :: v_dual_mov_b32 v219, v155
	.loc	1 69 26                         ; attention_bwd.py:69:26 @[ attention_bwd.py:184:50 ]
	ds_load_b128 v[149:152], v193 offset:1024
	ds_load_b128 v[153:156], v193 offset:2048
	;; [unrolled: 1-line block ×3, first 2 shown]
	.loc	1 52 24                         ; attention_bwd.py:52:24 @[ attention_bwd.py:184:50 ]
	s_wait_dscnt 0x7
	v_wmma_f32_16x16x16_f16 v[64:71], v[72:75], v[225:228], v[64:71]
	s_wait_dscnt 0x3
	s_delay_alu instid0(VALU_DEP_1) | instskip(NEXT) | instid1(VALU_DEP_1)
	v_wmma_f32_16x16x16_f16 v[64:71], v[76:79], v[221:224], v[64:71]
	.loc	1 53 32                         ; attention_bwd.py:53:32 @[ attention_bwd.py:184:50 ]
	v_dual_sub_f32 v78, v68, v105 :: v_dual_sub_f32 v79, v69, v106
	.loc	1 51 24                         ; attention_bwd.py:51:24 @[ attention_bwd.py:184:50 ]
	v_add_co_u32 v68, vcc_lo, v133, s12
	s_wait_alu depctr_va_vcc(0)
	v_add_co_ci_u32_e64 v69, null, s13, v134, vcc_lo
	.loc	1 73 19                         ; attention_bwd.py:73:19 @[ attention_bwd.py:184:50 ]
	v_add_co_u32 v72, vcc_lo, v121, s20
	s_wait_alu depctr_va_vcc(0)
	v_add_co_ci_u32_e64 v73, null, s21, v122, vcc_lo
	.loc	1 53 32                         ; attention_bwd.py:53:32 @[ attention_bwd.py:184:50 ]
	v_dual_sub_f32 v74, v64, v101 :: v_dual_sub_f32 v75, v65, v102
	v_dual_sub_f32 v76, v66, v103 :: v_dual_sub_f32 v77, v67, v104
	.loc	1 58 21                         ; attention_bwd.py:58:21 @[ attention_bwd.py:184:50 ]
	global_load_u16 v165, v[72:73], off
	.loc	1 73 19                         ; attention_bwd.py:73:19 @[ attention_bwd.py:184:50 ]
	v_add_co_u32 v72, vcc_lo, v119, s20
	s_wait_alu depctr_va_vcc(0)
	v_add_co_ci_u32_e64 v73, null, s21, v120, vcc_lo
	.loc	1 53 26                         ; attention_bwd.py:53:26 @[ attention_bwd.py:184:50 ]
	v_exp_f32_e32 v74, v74
	.loc	1 53 32 is_stmt 0               ; attention_bwd.py:53:32 @[ attention_bwd.py:184:50 ]
	v_dual_sub_f32 v101, v70, v107 :: v_dual_sub_f32 v102, v71, v108
	.loc	1 58 21 is_stmt 1               ; attention_bwd.py:58:21 @[ attention_bwd.py:184:50 ]
	global_load_u16 v166, v[72:73], off
	.loc	1 73 19                         ; attention_bwd.py:73:19 @[ attention_bwd.py:184:50 ]
	v_add_co_u32 v72, vcc_lo, v117, s20
	s_wait_alu depctr_va_vcc(0)
	v_add_co_ci_u32_e64 v73, null, s21, v118, vcc_lo
	.loc	1 51 20                         ; attention_bwd.py:51:20 @[ attention_bwd.py:184:50 ]
	s_clause 0x1
	global_load_b128 v[64:67], v[68:69], off offset:64
	global_load_b128 v[68:71], v[68:69], off offset:80
	.loc	1 58 21                         ; attention_bwd.py:58:21 @[ attention_bwd.py:184:50 ]
	global_load_u16 v167, v[72:73], off
	.loc	1 73 19                         ; attention_bwd.py:73:19 @[ attention_bwd.py:184:50 ]
	v_add_co_u32 v72, vcc_lo, v115, s20
	s_wait_alu depctr_va_vcc(0)
	v_add_co_ci_u32_e64 v73, null, s21, v116, vcc_lo
	.loc	1 58 21                         ; attention_bwd.py:58:21 @[ attention_bwd.py:184:50 ]
	global_load_u16 v168, v[72:73], off
	.loc	1 73 19                         ; attention_bwd.py:73:19 @[ attention_bwd.py:184:50 ]
	v_add_co_u32 v72, vcc_lo, v113, s20
	s_wait_alu depctr_va_vcc(0)
	v_add_co_ci_u32_e64 v73, null, s21, v114, vcc_lo
	;; [unrolled: 6-line block ×5, first 2 shown]
	.loc	1 58 21                         ; attention_bwd.py:58:21 @[ attention_bwd.py:184:50 ]
	global_load_u16 v172, v[72:73], off
	.loc	1 53 26                         ; attention_bwd.py:53:26 @[ attention_bwd.py:184:50 ]
	v_exp_f32_e32 v72, v75
	.loc	1 71 18                         ; attention_bwd.py:71:18 @[ attention_bwd.py:184:50 ]
	v_add_nc_u32_e32 v75, -5, v110
	v_add_nc_u32_e32 v73, -6, v110
	s_delay_alu instid0(VALU_DEP_2) | instskip(SKIP_2) | instid1(VALU_DEP_3)
	.loc	1 57 36                         ; attention_bwd.py:57:36 @[ attention_bwd.py:184:50 ]
	v_cmp_ge_i32_e64 s0, v75, v0
	.loc	1 53 26                         ; attention_bwd.py:53:26 @[ attention_bwd.py:184:50 ]
	v_exp_f32_e32 v75, v77
	.loc	1 71 18                         ; attention_bwd.py:71:18 @[ attention_bwd.py:184:50 ]
	v_add_nc_u32_e32 v77, -3, v110
	.loc	1 57 36                         ; attention_bwd.py:57:36 @[ attention_bwd.py:184:50 ]
	v_cmp_ge_i32_e32 vcc_lo, v73, v0
	.loc	1 53 26                         ; attention_bwd.py:53:26 @[ attention_bwd.py:184:50 ]
	v_exp_f32_e32 v73, v76
	s_delay_alu instid0(VALU_DEP_2)
	.loc	1 57 36                         ; attention_bwd.py:57:36 @[ attention_bwd.py:184:50 ]
	v_cmp_ge_i32_e64 s2, v77, v0
	.loc	1 53 26                         ; attention_bwd.py:53:26 @[ attention_bwd.py:184:50 ]
	v_exp_f32_e32 v77, v79
	.loc	1 57 36                         ; attention_bwd.py:57:36 @[ attention_bwd.py:184:50 ]
	s_wait_alu depctr_va_vcc(0)
	v_dual_cndmask_b32 v174, 0, v72 :: v_dual_add_nc_u32 v79, -1, v110
	v_cmp_ge_i32_e32 vcc_lo, v110, v0
	.loc	1 71 18                         ; attention_bwd.py:71:18 @[ attention_bwd.py:184:50 ]
	v_add_nc_u32_e32 v76, -4, v110
	s_delay_alu instid0(VALU_DEP_3)
	.loc	1 57 36                         ; attention_bwd.py:57:36 @[ attention_bwd.py:184:50 ]
	v_cmp_ge_i32_e64 s4, v79, v0
	.loc	1 71 18                         ; attention_bwd.py:71:18 @[ attention_bwd.py:184:50 ]
	v_add_nc_u32_e32 v79, -7, v110
	.loc	1 57 36                         ; attention_bwd.py:57:36 @[ attention_bwd.py:184:50 ]
	s_wait_alu depctr_va_sdst(0)
	v_cndmask_b32_e64 v176, 0, v73, s0
	v_cmp_ge_i32_e64 s1, v76, v0
	.loc	1 53 26                         ; attention_bwd.py:53:26 @[ attention_bwd.py:184:50 ]
	v_exp_f32_e32 v76, v78
	.loc	1 71 18                         ; attention_bwd.py:71:18 @[ attention_bwd.py:184:50 ]
	v_add_nc_u32_e32 v78, -2, v110
	.loc	1 57 36                         ; attention_bwd.py:57:36 @[ attention_bwd.py:184:50 ]
	v_cmp_ge_i32_e64 s5, v79, v0
	.loc	1 47 25                         ; attention_bwd.py:47:25 @[ attention_bwd.py:184:50 ]
	v_add_nc_u32_e32 v110, 16, v110
	.loc	1 61 21                         ; attention_bwd.py:61:21 @[ attention_bwd.py:184:50 ]
	v_add_nc_u32_e32 v175, s10, v80
	.loc	1 57 36                         ; attention_bwd.py:57:36 @[ attention_bwd.py:184:50 ]
	s_wait_alu depctr_va_sdst(0)
	v_cndmask_b32_e64 v177, 0, v75, s1
	v_cmp_ge_i32_e64 s3, v78, v0
	v_cndmask_b32_e64 v173, 0, v74, s5
	.loc	1 61 21                         ; attention_bwd.py:61:21 @[ attention_bwd.py:184:50 ]
	v_cvt_f16_f32_e64 v74, v174
	.loc	1 53 26                         ; attention_bwd.py:53:26 @[ attention_bwd.py:184:50 ]
	v_exp_f32_e32 v78, v101
	.loc	1 61 21                         ; attention_bwd.py:61:21 @[ attention_bwd.py:184:50 ]
	v_cvt_f16_f32_e64 v73, v177
	.loc	1 57 36                         ; attention_bwd.py:57:36 @[ attention_bwd.py:184:50 ]
	v_cndmask_b32_e64 v178, 0, v76, s2
	.loc	1 61 21                         ; attention_bwd.py:61:21 @[ attention_bwd.py:184:50 ]
	v_cvt_f16_f32_e64 v72, v173
	.loc	1 57 36                         ; attention_bwd.py:57:36 @[ attention_bwd.py:184:50 ]
	s_wait_alu depctr_va_sdst(0)
	v_cndmask_b32_e64 v179, 0, v77, s3
	.loc	1 68 21                         ; attention_bwd.py:68:21 @[ attention_bwd.py:184:50 ]
	v_fma_mixlo_f16 v92, v173, v92, 0
	v_fma_mixlo_f16 v93, v174, v93, 0
	;; [unrolled: 1-line block ×3, first 2 shown]
	.loc	1 61 21                         ; attention_bwd.py:61:21 @[ attention_bwd.py:184:50 ]
	ds_store_b16 v175, v72 offset:8192
	v_cvt_f16_f32_e64 v72, v176
	ds_store_b16 v175, v74 offset:8320
	.loc	1 57 36                         ; attention_bwd.py:57:36 @[ attention_bwd.py:184:50 ]
	v_cndmask_b32_e64 v180, 0, v78, s4
	.loc	1 68 21                         ; attention_bwd.py:68:21 @[ attention_bwd.py:184:50 ]
	v_fma_mixlo_f16 v95, v177, v95, 0
	v_fma_mixlo_f16 v97, v178, v97, 0
	.loc	1 61 21                         ; attention_bwd.py:61:21 @[ attention_bwd.py:184:50 ]
	ds_store_b16 v175, v72 offset:8448
	v_cvt_f16_f32_e64 v72, v178
	ds_store_b16 v175, v73 offset:8576
	v_cvt_f16_f32_e64 v73, v179
	.loc	1 68 21                         ; attention_bwd.py:68:21 @[ attention_bwd.py:184:50 ]
	v_fma_mixlo_f16 v98, v179, v98, 0
	v_fma_mixlo_f16 v99, v180, v99, 0
	.loc	1 61 21                         ; attention_bwd.py:61:21 @[ attention_bwd.py:184:50 ]
	ds_store_b16 v175, v72 offset:8704
	v_cvt_f16_f32_e64 v72, v180
	ds_store_b16 v175, v73 offset:8832
	.loc	1 53 26                         ; attention_bwd.py:53:26 @[ attention_bwd.py:184:50 ]
	v_exp_f32_e32 v73, v102
	.loc	1 57 36                         ; attention_bwd.py:57:36 @[ attention_bwd.py:184:50 ]
	s_wait_alu depctr_va_vcc(0)
	s_delay_alu instid0(TRANS32_DEP_1) | instskip(NEXT) | instid1(VALU_DEP_1)
	v_cndmask_b32_e32 v181, 0, v73, vcc_lo
	.loc	1 61 21                         ; attention_bwd.py:61:21 @[ attention_bwd.py:184:50 ]
	v_cvt_f16_f32_e64 v73, v181
	ds_store_b16 v175, v72 offset:8960
	ds_store_b16 v175, v73 offset:9088
	.loc	1 58 21                         ; attention_bwd.py:58:21 @[ attention_bwd.py:184:50 ]
	ds_load_u16 v74, v81 offset:5312
	ds_load_u16 v73, v81 offset:4800
	;; [unrolled: 1-line block ×14, first 2 shown]
	s_wait_dscnt 0xc
	ds_load_u16_d16_hi v73, v81 offset:5056
	ds_load_u16 v72, v81 offset:4288
	ds_load_u16 v76, v81 offset:4160
	s_wait_dscnt 0x7
	ds_load_u16_d16_hi v107, v81 offset:5504
	ds_load_u16_d16_hi v108, v81 offset:6016
	ds_load_u16_d16_hi v104, v81 offset:5888
	ds_load_u16_d16_hi v103, v81 offset:5376
	s_wait_dscnt 0x9
	ds_load_u16_d16_hi v102, v81 offset:4864
	ds_load_u16_d16_hi v101, v81 offset:4352
	s_wait_dscnt 0x6
	ds_load_u16_d16_hi v76, v81 offset:4416
	ds_load_u16_d16_hi v105, v81 offset:4480
	;; [unrolled: 1-line block ×9, first 2 shown]
	.loc	1 69 26                         ; attention_bwd.py:69:26 @[ attention_bwd.py:184:50 ]
	ds_load_b128 v[144:147], v193
	.loc	1 68 21                         ; attention_bwd.py:68:21 @[ attention_bwd.py:184:50 ]
	v_fma_mixlo_f16 v100, v181, v100, 0
	.loc	1 61 21                         ; attention_bwd.py:61:21 @[ attention_bwd.py:184:50 ]
	s_wait_loadcnt_dscnt 0x0
	s_barrier_signal -1
	s_barrier_wait -1
	global_inv scope:SCOPE_SE
	ds_load_u16 v161, v182 offset:8192
	ds_load_u16 v162, v182 offset:8448
	;; [unrolled: 1-line block ×4, first 2 shown]
	s_wait_dscnt 0x3
	ds_load_u16_d16_hi v161, v182 offset:8320
	s_wait_dscnt 0x3
	ds_load_u16_d16_hi v162, v182 offset:8576
	;; [unrolled: 2-line block ×4, first 2 shown]
	.loc	1 62 26                         ; attention_bwd.py:62:26 @[ attention_bwd.py:184:50 ]
	s_wait_dscnt 0x0
	v_wmma_f32_16x16x16_f16 v[40:47], v[76:79], v[161:164], v[40:47]
	.loc	1 64 25                         ; attention_bwd.py:64:25 @[ attention_bwd.py:184:50 ]
	v_add_co_u32 v76, vcc_lo, v131, s12
	s_wait_alu depctr_va_vcc(0)
	v_add_co_ci_u32_e64 v77, null, s13, v132, vcc_lo
	.loc	1 62 26                         ; attention_bwd.py:62:26 @[ attention_bwd.py:184:50 ]
	v_wmma_f32_16x16x16_f16 v[56:63], v[72:75], v[161:164], v[56:63]
	.loc	1 64 21                         ; attention_bwd.py:64:21 @[ attention_bwd.py:184:50 ]
	s_clause 0x1
	global_load_b128 v[72:75], v[76:77], off offset:64
	global_load_b128 v[76:79], v[76:77], off offset:80
	.loc	1 47 25                         ; attention_bwd.py:47:25 @[ attention_bwd.py:184:50 ]
	v_add_co_u32 v129, vcc_lo, v129, s40
	s_wait_alu depctr_va_vcc(0)
	v_add_co_ci_u32_e64 v130, null, s41, v130, vcc_lo
	v_add_co_u32 v82, vcc_lo, v82, s40
	s_wait_alu depctr_va_vcc(0)
	v_add_co_ci_u32_e64 v83, null, s41, v83, vcc_lo
	;; [unrolled: 3-line block ×15, first 2 shown]
	v_add_co_u32 v123, vcc_lo, v123, s40
	.loc	1 62 26                         ; attention_bwd.py:62:26 @[ attention_bwd.py:184:50 ]
	v_wmma_f32_16x16x16_f16 v[32:39], v[101:104], v[161:164], v[32:39]
	v_wmma_f32_16x16x16_f16 v[48:55], v[105:108], v[161:164], v[48:55]
	.loc	1 47 25                         ; attention_bwd.py:47:25 @[ attention_bwd.py:184:50 ]
	s_wait_alu depctr_va_vcc(0)
	v_add_co_ci_u32_e64 v124, null, s41, v124, vcc_lo
	s_add_nc_u64 s[12:13], s[12:13], 64
	s_wait_alu depctr_sa_sdst(0)
	s_cmp_lg_u32 s12, 0xc0
	.loc	1 68 21                         ; attention_bwd.py:68:21 @[ attention_bwd.py:184:50 ]
	s_wait_loadcnt 0x0
	s_barrier_signal -1
	s_barrier_wait -1
	global_inv scope:SCOPE_SE
	ds_store_b16 v175, v92 offset:8192
	ds_store_b16 v175, v93 offset:8320
	;; [unrolled: 1-line block ×8, first 2 shown]
	s_wait_loadcnt_dscnt 0x0
	s_barrier_signal -1
	s_barrier_wait -1
	global_inv scope:SCOPE_SE
	ds_load_u16 v92, v182 offset:8192
	ds_load_u16 v93, v182 offset:8448
	;; [unrolled: 1-line block ×4, first 2 shown]
	s_wait_dscnt 0x3
	ds_load_u16_d16_hi v92, v182 offset:8320
	s_wait_dscnt 0x3
	ds_load_u16_d16_hi v93, v182 offset:8576
	;; [unrolled: 2-line block ×4, first 2 shown]
	scratch_load_b128 v[176:179], off, off offset:32 ; 16-byte Folded Reload
	.loc	1 58 21                         ; attention_bwd.py:58:21 @[ attention_bwd.py:184:50 ]
	ds_store_b16 v252, v172 offset:7680
	scratch_load_b128 v[172:175], off, off offset:80 ; 16-byte Folded Reload
	.loc	1 48 21                         ; attention_bwd.py:48:21 @[ attention_bwd.py:184:50 ]
	ds_store_b16 v252, v84
	ds_store_b16 v252, v85 offset:512
	ds_store_b16 v252, v86 offset:1024
	;; [unrolled: 1-line block ×7, first 2 shown]
	.loc	1 58 21                         ; attention_bwd.py:58:21 @[ attention_bwd.py:184:50 ]
	ds_store_b16 v252, v165 offset:4096
	ds_store_b16 v252, v166 offset:4608
	;; [unrolled: 1-line block ×7, first 2 shown]
	.loc	1 69 26                         ; attention_bwd.py:69:26 @[ attention_bwd.py:184:50 ]
	s_wait_dscnt 0x10
	v_wmma_f32_16x16x16_f16 v[1:8], v[144:147], v[92:95], v[1:8]
	s_clause 0x2                            ; 48-byte Folded Reload
	scratch_load_b128 v[144:147], off, off offset:64
	scratch_load_b128 v[16:19], off, off
	scratch_load_b128 v[20:23], off, off offset:16
	v_wmma_f32_16x16x16_f16 v[24:31], v[153:156], v[92:95], v[24:31]
	s_wait_loadcnt 0x0
	v_wmma_f32_16x16x16_f16 v[16:23], v[149:152], v[92:95], v[16:23]
	v_dual_mov_b32 v149, v213 :: v_dual_mov_b32 v152, v216
	v_dual_mov_b32 v150, v214 :: v_dual_mov_b32 v151, v215
	;; [unrolled: 1-line block ×4, first 2 shown]
	s_clause 0x1                            ; 32-byte Folded Reload
	scratch_load_b128 v[217:220], off, off offset:96
	scratch_load_b128 v[213:216], off, off offset:48
	s_clause 0x1                            ; 32-byte Folded Spill
	scratch_store_b128 off, v[16:19], off
	scratch_store_b128 off, v[20:23], off offset:16
	v_wmma_f32_16x16x16_f16 v[149:156], v[157:160], v[92:95], v[149:156]
	.loc	1 47 25                         ; attention_bwd.py:47:25 @[ attention_bwd.py:184:50 ]
	s_cbranch_scc1 .LBB0_1
; %bb.2:
	.loc	1 69 26                         ; attention_bwd.py:69:26 @[ attention_bwd.py:184:50 ]
	s_wait_storecnt 0x0
	s_wait_loadcnt_dscnt 0x0
	s_barrier_signal -1
.Ltmp87:
	.loc	1 188 19                        ; attention_bwd.py:188:19
	s_add_co_i32 s2, s34, 64
	v_mov_b32_e32 v131, v221
	.loc	1 191 25                        ; attention_bwd.py:191:25
	s_wait_alu depctr_sa_sdst(0)
	s_sub_co_i32 s1, s11, s2
	v_mov_b32_e32 v132, v222
	v_dual_mov_b32 v134, v224 :: v_dual_mov_b32 v133, v223
	v_mov_b32_e32 v139, v225
	v_dual_mov_b32 v141, v227 :: v_dual_mov_b32 v140, v226
	v_dual_mov_b32 v142, v228 :: v_dual_mov_b32 v157, v229
	;; [unrolled: 1-line block ×4, first 2 shown]
.Ltmp88:
	.loc	1 69 26                         ; attention_bwd.py:69:26 @[ attention_bwd.py:184:50 ]
	s_barrier_wait -1
	global_inv scope:SCOPE_SE
	.loc	1 48 21                         ; attention_bwd.py:48:21 @[ attention_bwd.py:184:50 ]
	ds_load_u16 v88, v201
	ds_load_u16 v89, v201 offset:64
	ds_load_u16 v90, v201 offset:128
	;; [unrolled: 1-line block ×7, first 2 shown]
	s_wait_dscnt 0x7
	ds_load_u16_d16_hi v88, v201 offset:32
	s_wait_dscnt 0x7
	ds_load_u16_d16_hi v89, v201 offset:96
	;; [unrolled: 2-line block ×8, first 2 shown]
	s_clause 0x2                            ; 48-byte Folded Spill
	scratch_store_b128 off, v[194:197], off offset:924
	scratch_store_b128 off, v[246:249], off offset:860
	;; [unrolled: 1-line block ×3, first 2 shown]
	v_mov_b32_e32 v136, v243
	v_dual_mov_b32 v138, v245 :: v_dual_mov_b32 v159, v231
	.loc	1 52 24                         ; attention_bwd.py:52:24 @[ attention_bwd.py:184:50 ]
	s_wait_dscnt 0x4
	v_wmma_f32_16x16x16_f16 v[80:87], v[88:91], v[246:249], 0
	s_wait_dscnt 0x0
	s_delay_alu instid0(VALU_DEP_1)
	v_wmma_f32_16x16x16_f16 v[80:87], v[92:95], v[242:245], v[80:87]
	.loc	1 48 21                         ; attention_bwd.py:48:21 @[ attention_bwd.py:184:50 ]
	ds_load_u16 v88, v201 offset:1024
	ds_load_u16 v89, v201 offset:1088
	ds_load_u16 v90, v201 offset:1152
	ds_load_u16 v91, v201 offset:1216
	ds_load_u16 v92, v201 offset:1536
	ds_load_u16 v93, v201 offset:1600
	ds_load_u16 v94, v201 offset:1664
	ds_load_u16 v95, v201 offset:1728
	s_wait_dscnt 0x7
	ds_load_u16_d16_hi v88, v201 offset:1056
	s_wait_dscnt 0x7
	ds_load_u16_d16_hi v89, v201 offset:1120
	s_wait_dscnt 0x7
	ds_load_u16_d16_hi v90, v201 offset:1184
	s_wait_dscnt 0x7
	ds_load_u16_d16_hi v91, v201 offset:1248
	s_wait_dscnt 0x7
	ds_load_u16_d16_hi v92, v201 offset:1568
	s_wait_dscnt 0x7
	ds_load_u16_d16_hi v93, v201 offset:1632
	s_wait_dscnt 0x7
	ds_load_u16_d16_hi v94, v201 offset:1696
	s_wait_dscnt 0x7
	ds_load_u16_d16_hi v95, v201 offset:1760
	.loc	1 52 24                         ; attention_bwd.py:52:24 @[ attention_bwd.py:184:50 ]
	s_wait_dscnt 0x4
	v_wmma_f32_16x16x16_f16 v[80:87], v[88:91], v[238:241], v[80:87]
	s_wait_dscnt 0x0
	s_delay_alu instid0(VALU_DEP_1)
	v_wmma_f32_16x16x16_f16 v[80:87], v[92:95], v[233:236], v[80:87]
	.loc	1 48 21                         ; attention_bwd.py:48:21 @[ attention_bwd.py:184:50 ]
	ds_load_u16 v88, v201 offset:2048
	ds_load_u16 v89, v201 offset:2112
	ds_load_u16 v90, v201 offset:2176
	ds_load_u16 v91, v201 offset:2240
	ds_load_u16 v92, v201 offset:2560
	ds_load_u16 v93, v201 offset:2624
	ds_load_u16 v94, v201 offset:2688
	ds_load_u16 v95, v201 offset:2752
	s_wait_dscnt 0x7
	ds_load_u16_d16_hi v88, v201 offset:2080
	s_wait_dscnt 0x7
	ds_load_u16_d16_hi v89, v201 offset:2144
	s_wait_dscnt 0x7
	ds_load_u16_d16_hi v90, v201 offset:2208
	s_wait_dscnt 0x7
	ds_load_u16_d16_hi v91, v201 offset:2272
	s_wait_dscnt 0x7
	ds_load_u16_d16_hi v92, v201 offset:2592
	s_wait_dscnt 0x7
	ds_load_u16_d16_hi v93, v201 offset:2656
	s_wait_dscnt 0x7
	ds_load_u16_d16_hi v94, v201 offset:2720
	s_wait_dscnt 0x7
	ds_load_u16_d16_hi v95, v201 offset:2784
	;; [unrolled: 31-line block ×3, first 2 shown]
	.loc	1 52 24                         ; attention_bwd.py:52:24 @[ attention_bwd.py:184:50 ]
	s_wait_dscnt 0x4
	v_wmma_f32_16x16x16_f16 v[80:87], v[88:91], v[225:228], v[80:87]
	s_wait_dscnt 0x0
	s_delay_alu instid0(VALU_DEP_1) | instskip(NEXT) | instid1(VALU_DEP_1)
	v_wmma_f32_16x16x16_f16 v[80:87], v[92:95], v[221:224], v[80:87]
	.loc	1 53 32                         ; attention_bwd.py:53:32 @[ attention_bwd.py:184:50 ]
	v_dual_sub_f32 v97, v80, v64 :: v_dual_sub_f32 v98, v81, v65
	s_delay_alu instid0(VALU_DEP_2) | instskip(NEXT) | instid1(VALU_DEP_3)
	v_dual_sub_f32 v99, v82, v66 :: v_dual_sub_f32 v100, v83, v67
	v_dual_sub_f32 v101, v84, v68 :: v_dual_sub_f32 v102, v85, v69
	s_delay_alu instid0(VALU_DEP_4)
	v_dual_sub_f32 v103, v86, v70 :: v_dual_sub_f32 v104, v87, v71
	.loc	1 66 24                         ; attention_bwd.py:66:24 @[ attention_bwd.py:184:50 ]
	ds_load_b128 v[80:83], v204 offset:4096
	ds_load_b128 v[84:87], v204 offset:4128
	;; [unrolled: 1-line block ×3, first 2 shown]
	.loc	1 69 26                         ; attention_bwd.py:69:26 @[ attention_bwd.py:184:50 ]
	ds_load_b128 v[92:95], v193 offset:3072
	.loc	1 66 24                         ; attention_bwd.py:66:24 @[ attention_bwd.py:184:50 ]
	s_wait_dscnt 0x3
	v_wmma_f32_16x16x16_f16 v[64:71], v[80:83], v[172:175], 0
	s_wait_dscnt 0x2
	s_delay_alu instid0(VALU_DEP_1)
	v_wmma_f32_16x16x16_f16 v[64:71], v[84:87], v[144:147], v[64:71]
	ds_load_b128 v[80:83], v204 offset:4192
	ds_load_b128 v[84:87], v204 offset:4224
	s_wait_dscnt 0x3
	v_wmma_f32_16x16x16_f16 v[64:71], v[88:91], v[213:216], v[64:71]
	s_wait_dscnt 0x1
	s_delay_alu instid0(VALU_DEP_1) | instskip(SKIP_1) | instid1(VALU_DEP_1)
	v_wmma_f32_16x16x16_f16 v[64:71], v[80:83], v[176:179], v[64:71]
	s_wait_dscnt 0x0
	v_wmma_f32_16x16x16_f16 v[64:71], v[84:87], v[189:192], v[64:71]
	ds_load_b128 v[80:83], v204 offset:4256
	ds_load_b128 v[84:87], v204 offset:4288
	s_wait_dscnt 0x1
	v_wmma_f32_16x16x16_f16 v[64:71], v[80:83], v[194:197], v[64:71]
	ds_load_b128 v[80:83], v204 offset:4320
	s_wait_dscnt 0x1
	v_wmma_f32_16x16x16_f16 v[64:71], v[84:87], v[9:12], v[64:71]
	s_wait_dscnt 0x0
	s_delay_alu instid0(VALU_DEP_1) | instskip(NEXT) | instid1(VALU_DEP_1)
	v_wmma_f32_16x16x16_f16 v[64:71], v[80:83], v[205:208], v[64:71]
	.loc	1 67 26                         ; attention_bwd.py:67:26 @[ attention_bwd.py:184:50 ]
	v_dual_sub_f32 v105, v64, v72 :: v_dual_sub_f32 v106, v65, v73
	.loc	1 53 26                         ; attention_bwd.py:53:26 @[ attention_bwd.py:184:50 ]
	v_exp_f32_e32 v64, v98
	.loc	1 47 25                         ; attention_bwd.py:47:25 @[ attention_bwd.py:184:50 ]
	v_add_nc_u32_e32 v65, -6, v110
	s_delay_alu instid0(VALU_DEP_3) | instskip(SKIP_2) | instid1(VALU_DEP_4)
	.loc	1 67 26                         ; attention_bwd.py:67:26 @[ attention_bwd.py:184:50 ]
	v_dual_sub_f32 v107, v66, v74 :: v_dual_sub_f32 v108, v67, v75
	v_dual_sub_f32 v111, v68, v76 :: v_dual_add_nc_u32 v66, -7, v110
	v_sub_f32_e32 v112, v69, v77
	.loc	1 57 36                         ; attention_bwd.py:57:36 @[ attention_bwd.py:184:50 ]
	v_cmp_ge_i32_e32 vcc_lo, v65, v0
	.loc	1 53 26                         ; attention_bwd.py:53:26 @[ attention_bwd.py:184:50 ]
	v_exp_f32_e32 v65, v97
	s_delay_alu instid0(VALU_DEP_3)
	.loc	1 57 36                         ; attention_bwd.py:57:36 @[ attention_bwd.py:184:50 ]
	v_cmp_ge_i32_e64 s0, v66, v0
	.loc	1 47 25                         ; attention_bwd.py:47:25 @[ attention_bwd.py:184:50 ]
	v_add_nc_u32_e32 v66, -5, v110
	.loc	1 67 26                         ; attention_bwd.py:67:26 @[ attention_bwd.py:184:50 ]
	v_dual_sub_f32 v113, v70, v78 :: v_dual_sub_f32 v114, v71, v79
	.loc	1 57 36                         ; attention_bwd.py:57:36 @[ attention_bwd.py:184:50 ]
	s_wait_alu depctr_va_vcc(0)
	v_cndmask_b32_e32 v116, 0, v64, vcc_lo
	.loc	1 61 21                         ; attention_bwd.py:61:21 @[ attention_bwd.py:184:50 ]
	v_or3_b32 v97, v96, s15, v109
	.loc	1 57 36                         ; attention_bwd.py:57:36 @[ attention_bwd.py:184:50 ]
	v_cmp_ge_i32_e32 vcc_lo, v66, v0
	.loc	1 47 25                         ; attention_bwd.py:47:25 @[ attention_bwd.py:184:50 ]
	v_add_nc_u32_e32 v66, -4, v110
	.loc	1 57 36                         ; attention_bwd.py:57:36 @[ attention_bwd.py:184:50 ]
	s_wait_alu depctr_va_sdst(0)
	v_cndmask_b32_e64 v115, 0, v65, s0
	.loc	1 61 21                         ; attention_bwd.py:61:21 @[ attention_bwd.py:184:50 ]
	v_or3_b32 v65, v109, v96, s10
	v_add_nc_u32_e32 v195, 0, v97
	.loc	1 41 56                         ; attention_bwd.py:41:56 @[ attention_bwd.py:184:50 ]
	s_and_b32 s0, s42, 7
	s_delay_alu instid0(VALU_DEP_3) | instskip(NEXT) | instid1(VALU_DEP_3)
	.loc	1 61 21                         ; attention_bwd.py:61:21 @[ attention_bwd.py:184:50 ]
	v_cvt_f16_f32_e32 v64, v115
	v_add_nc_u32_e32 v194, 0, v65
	v_cvt_f16_f32_e32 v65, v116
	.loc	1 41 67                         ; attention_bwd.py:41:67 @[ attention_bwd.py:184:50 ]
	s_wait_alu depctr_sa_sdst(0)
	s_mul_i32 s10, s23, s0
.Ltmp89:
	.loc	1 41 49 is_stmt 0               ; attention_bwd.py:41:49 @[ attention_bwd.py:200:26 ]
	s_wait_alu depctr_sa_sdst(0)
	s_ashr_i32 s11, s10, 31
.Ltmp90:
	.loc	1 61 21 is_stmt 1               ; attention_bwd.py:61:21 @[ attention_bwd.py:184:50 ]
	ds_store_b16 v194, v64 offset:8192
	.loc	1 53 26                         ; attention_bwd.py:53:26 @[ attention_bwd.py:184:50 ]
	v_exp_f32_e32 v64, v99
.Ltmp91:
	.loc	1 47 25                         ; attention_bwd.py:47:25 @[ attention_bwd.py:200:26 ]
	s_cmp_gt_i32 s1, 31
	s_cselect_b32 s3, -1, 0
	s_cmp_lt_i32 s1, 32
.Ltmp92:
	.loc	1 57 36                         ; attention_bwd.py:57:36 @[ attention_bwd.py:184:50 ]
	s_wait_alu depctr_va_vcc(0)
	s_delay_alu instid0(TRANS32_DEP_1) | instskip(SKIP_2) | instid1(VALU_DEP_3)
	v_cndmask_b32_e32 v117, 0, v64, vcc_lo
	v_cmp_ge_i32_e32 vcc_lo, v66, v0
	.loc	1 47 25                         ; attention_bwd.py:47:25 @[ attention_bwd.py:184:50 ]
	v_add_nc_u32_e32 v66, -3, v110
	.loc	1 61 21                         ; attention_bwd.py:61:21 @[ attention_bwd.py:184:50 ]
	v_cvt_f16_f32_e32 v64, v117
	ds_store_b16 v194, v65 offset:8320
	.loc	1 53 26                         ; attention_bwd.py:53:26 @[ attention_bwd.py:184:50 ]
	v_exp_f32_e32 v65, v100
	.loc	1 57 36                         ; attention_bwd.py:57:36 @[ attention_bwd.py:184:50 ]
	s_wait_alu depctr_va_vcc(0)
	s_delay_alu instid0(TRANS32_DEP_1) | instskip(SKIP_2) | instid1(VALU_DEP_3)
	v_cndmask_b32_e32 v118, 0, v65, vcc_lo
	v_cmp_ge_i32_e32 vcc_lo, v66, v0
	.loc	1 47 25                         ; attention_bwd.py:47:25 @[ attention_bwd.py:184:50 ]
	v_add_nc_u32_e32 v66, -2, v110
	.loc	1 61 21                         ; attention_bwd.py:61:21 @[ attention_bwd.py:184:50 ]
	v_cvt_f16_f32_e32 v65, v118
	ds_store_b16 v194, v64 offset:8448
	.loc	1 53 26                         ; attention_bwd.py:53:26 @[ attention_bwd.py:184:50 ]
	v_exp_f32_e32 v64, v101
	;; [unrolled: 12-line block ×3, first 2 shown]
	.loc	1 57 36                         ; attention_bwd.py:57:36 @[ attention_bwd.py:184:50 ]
	s_wait_alu depctr_va_vcc(0)
	s_delay_alu instid0(TRANS32_DEP_1) | instskip(SKIP_1) | instid1(VALU_DEP_2)
	v_cndmask_b32_e32 v102, 0, v65, vcc_lo
	v_cmp_ge_i32_e32 vcc_lo, v66, v0
	.loc	1 61 21                         ; attention_bwd.py:61:21 @[ attention_bwd.py:184:50 ]
	v_cvt_f16_f32_e32 v65, v102
	ds_store_b16 v194, v64 offset:8704
	.loc	1 53 26                         ; attention_bwd.py:53:26 @[ attention_bwd.py:184:50 ]
	v_exp_f32_e32 v64, v103
	.loc	1 61 21                         ; attention_bwd.py:61:21 @[ attention_bwd.py:184:50 ]
	ds_store_b16 v194, v65 offset:8832
	.loc	1 53 26                         ; attention_bwd.py:53:26 @[ attention_bwd.py:184:50 ]
	v_exp_f32_e32 v65, v104
	.loc	1 57 36                         ; attention_bwd.py:57:36 @[ attention_bwd.py:184:50 ]
	s_wait_alu depctr_va_vcc(0)
	v_cndmask_b32_e32 v103, 0, v64, vcc_lo
	v_cmp_ge_i32_e32 vcc_lo, v110, v0
	s_delay_alu instid0(VALU_DEP_2) | instskip(SKIP_1) | instid1(TRANS32_DEP_1)
	.loc	1 61 21                         ; attention_bwd.py:61:21 @[ attention_bwd.py:184:50 ]
	v_cvt_f16_f32_e32 v64, v103
	.loc	1 57 36                         ; attention_bwd.py:57:36 @[ attention_bwd.py:184:50 ]
	s_wait_alu depctr_va_vcc(0)
	v_cndmask_b32_e32 v104, 0, v65, vcc_lo
	s_delay_alu instid0(VALU_DEP_1) | instskip(SKIP_3) | instid1(VALU_DEP_1)
	.loc	1 61 21                         ; attention_bwd.py:61:21 @[ attention_bwd.py:184:50 ]
	v_cvt_f16_f32_e32 v65, v104
	ds_store_b16 v194, v64 offset:8960
	ds_store_b16 v194, v65 offset:9088
	v_lshlrev_b32_e32 v64, 7, v188
	.loc	1 58 21                         ; attention_bwd.py:58:21 @[ attention_bwd.py:184:50 ]
	v_or3_b32 v64, v64, s14, v96
	s_delay_alu instid0(VALU_DEP_1)
	v_add_nc_u32_e32 v205, 0, v64
	ds_load_u16 v66, v205 offset:5312
	ds_load_u16 v65, v205 offset:4800
	;; [unrolled: 1-line block ×6, first 2 shown]
	s_wait_dscnt 0x4
	ds_load_u16_d16_hi v65, v205 offset:5056
	ds_load_u16 v64, v205 offset:4288
	ds_load_u16 v72, v205 offset:4160
	;; [unrolled: 1-line block ×10, first 2 shown]
	s_wait_dscnt 0x7
	ds_load_u16_d16_hi v76, v205 offset:4352
	ds_load_u16_d16_hi v72, v205 offset:4416
	;; [unrolled: 1-line block ×5, first 2 shown]
	s_wait_dscnt 0xb
	ds_load_u16_d16_hi v78, v205 offset:5376
	s_wait_dscnt 0xb
	ds_load_u16_d16_hi v77, v205 offset:4864
	ds_load_u16_d16_hi v73, v205 offset:4928
	;; [unrolled: 1-line block ×3, first 2 shown]
	s_wait_dscnt 0xd
	ds_load_u16_d16_hi v71, v205 offset:6016
	s_wait_dscnt 0xd
	ds_load_u16_d16_hi v79, v205 offset:5888
	;; [unrolled: 2-line block ×3, first 2 shown]
	ds_load_u16_d16_hi v66, v205 offset:5568
	s_wait_dscnt 0xe
	ds_load_u16_d16_hi v75, v205 offset:5952
	s_wait_dscnt 0xe
	ds_load_u16_d16_hi v67, v205 offset:6080
	.loc	1 69 26                         ; attention_bwd.py:69:26 @[ attention_bwd.py:184:50 ]
	ds_load_b128 v[80:83], v193 offset:1024
	ds_load_b128 v[84:87], v193 offset:2048
	ds_load_b128 v[88:91], v193
	.loc	1 61 21                         ; attention_bwd.py:61:21 @[ attention_bwd.py:184:50 ]
	s_wait_storecnt 0x0
	s_wait_loadcnt_dscnt 0x0
	s_barrier_signal -1
	s_barrier_wait -1
	global_inv scope:SCOPE_SE
	ds_load_u16 v97, v195 offset:8192
	ds_load_u16 v98, v195 offset:8448
	;; [unrolled: 1-line block ×4, first 2 shown]
	s_wait_dscnt 0x3
	ds_load_u16_d16_hi v97, v195 offset:8320
	s_wait_dscnt 0x3
	ds_load_u16_d16_hi v98, v195 offset:8576
	;; [unrolled: 2-line block ×4, first 2 shown]
	.loc	1 62 26                         ; attention_bwd.py:62:26 @[ attention_bwd.py:184:50 ]
	s_wait_dscnt 0x0
	v_wmma_f32_16x16x16_f16 v[48:55], v[68:71], v[97:100], v[48:55]
	s_clause 0x1                            ; 32-byte Folded Spill
	scratch_store_b128 off, v[48:51], off offset:208
	scratch_store_b128 off, v[52:55], off offset:224
	v_wmma_f32_16x16x16_f16 v[56:63], v[64:67], v[97:100], v[56:63]
	.loc	1 68 21                         ; attention_bwd.py:68:21 @[ attention_bwd.py:184:50 ]
	v_fma_mixlo_f16 v64, v115, v105, 0
	v_fma_mixlo_f16 v65, v116, v106, 0
	;; [unrolled: 1-line block ×8, first 2 shown]
	v_mov_b32_e32 v108, v233
	v_mov_b32_e32 v112, v238
	.loc	1 62 26                         ; attention_bwd.py:62:26 @[ attention_bwd.py:184:50 ]
	v_wmma_f32_16x16x16_f16 v[32:39], v[76:79], v[97:100], v[32:39]
	v_wmma_f32_16x16x16_f16 v[40:47], v[72:75], v[97:100], v[40:47]
	v_dual_mov_b32 v109, v234 :: v_dual_mov_b32 v110, v235
	v_mov_b32_e32 v111, v236
	v_dual_mov_b32 v113, v239 :: v_dual_mov_b32 v114, v240
	v_mov_b32_e32 v115, v241
	.loc	1 68 21                         ; attention_bwd.py:68:21 @[ attention_bwd.py:184:50 ]
	s_wait_loadcnt 0x0
	s_wait_storecnt 0x0
	s_barrier_signal -1
	s_barrier_wait -1
	global_inv scope:SCOPE_SE
	ds_store_b16 v194, v64 offset:8192
	ds_store_b16 v194, v65 offset:8320
	;; [unrolled: 1-line block ×8, first 2 shown]
	s_wait_loadcnt_dscnt 0x0
	s_barrier_signal -1
	v_dual_mov_b32 v70, 0 :: v_dual_mov_b32 v71, 0
	s_barrier_wait -1
	global_inv scope:SCOPE_SE
	.loc	1 69 26                         ; attention_bwd.py:69:26 @[ attention_bwd.py:184:50 ]
	s_clause 0x1                            ; 32-byte Folded Reload
	scratch_load_b128 v[16:19], off, off
	scratch_load_b128 v[20:23], off, off offset:16
	.loc	1 68 21                         ; attention_bwd.py:68:21 @[ attention_bwd.py:184:50 ]
	ds_load_u16 v64, v195 offset:8192
	ds_load_u16 v65, v195 offset:8448
	;; [unrolled: 1-line block ×4, first 2 shown]
	s_wait_dscnt 0x3
	ds_load_u16_d16_hi v64, v195 offset:8320
	s_wait_dscnt 0x3
	ds_load_u16_d16_hi v65, v195 offset:8576
	;; [unrolled: 2-line block ×4, first 2 shown]
	.loc	1 69 26                         ; attention_bwd.py:69:26 @[ attention_bwd.py:184:50 ]
	s_wait_dscnt 0x0
	v_wmma_f32_16x16x16_f16 v[1:8], v[88:91], v[64:67], v[1:8]
	v_wmma_f32_16x16x16_f16 v[24:31], v[84:87], v[64:67], v[24:31]
	;; [unrolled: 1-line block ×3, first 2 shown]
	s_wait_loadcnt 0x0
	v_wmma_f32_16x16x16_f16 v[16:23], v[80:83], v[64:67], v[16:23]
.Ltmp93:
	.loc	1 38 23                         ; attention_bwd.py:38:23 @[ attention_bwd.py:200:26 ]
	v_or_b32_e32 v64, s2, v184
.Ltmp94:
	.loc	1 69 26                         ; attention_bwd.py:69:26 @[ attention_bwd.py:184:50 ]
	s_clause 0x1                            ; 32-byte Folded Spill
	scratch_store_b128 off, v[16:19], off
	scratch_store_b128 off, v[20:23], off offset:16
.Ltmp95:
	.loc	1 41 36                         ; attention_bwd.py:41:36 @[ attention_bwd.py:200:26 ]
	v_mul_lo_u32 v64, s22, v64
	s_delay_alu instid0(VALU_DEP_1) | instskip(NEXT) | instid1(VALU_DEP_1)
	.loc	1 41 18 is_stmt 0               ; attention_bwd.py:41:18 @[ attention_bwd.py:200:26 ]
	v_ashrrev_i32_e32 v65, 31, v64
	v_lshlrev_b64_e32 v[64:65], 1, v[64:65]
	s_delay_alu instid0(VALU_DEP_1) | instskip(SKIP_1) | instid1(VALU_DEP_2)
	v_add_co_u32 v64, vcc_lo, s62, v64
	s_wait_alu depctr_va_vcc(0)
	v_add_co_ci_u32_e64 v65, null, s63, v65, vcc_lo
	.loc	1 48 21 is_stmt 1               ; attention_bwd.py:48:21 @[ attention_bwd.py:200:26 ]
	s_cbranch_scc1 .LBB0_4
; %bb.3:
	.loc	1 41 49                         ; attention_bwd.py:41:49 @[ attention_bwd.py:200:26 ]
	s_wait_alu depctr_sa_sdst(0)
	s_lshl_b64 s[4:5], s[10:11], 1
	s_wait_alu depctr_sa_sdst(0)
	v_add_co_u32 v66, vcc_lo, v64, s4
	s_wait_alu depctr_va_vcc(0)
	v_add_co_ci_u32_e64 v67, null, s5, v65, vcc_lo
	.loc	1 48 21                         ; attention_bwd.py:48:21 @[ attention_bwd.py:200:26 ]
	global_load_u16 v71, v[66:67], off
.LBB0_4:
	s_wait_alu depctr_sa_sdst(0)
	v_cndmask_b32_e64 v66, 0, 1, s3
.Ltmp96:
	.loc	1 41 67                         ; attention_bwd.py:41:67 @[ attention_bwd.py:184:50 ]
	s_lshl3_add_u32 s12, s23, s10
.Ltmp97:
	.loc	1 48 21                         ; attention_bwd.py:48:21 @[ attention_bwd.py:200:26 ]
	s_and_not1_b32 vcc_lo, exec_lo, s3
	.loc	1 41 49                         ; attention_bwd.py:41:49 @[ attention_bwd.py:200:26 ]
	s_wait_alu depctr_sa_sdst(0)
	s_ashr_i32 s13, s12, 31
	s_clause 0x1                            ; 32-byte Folded Spill
	scratch_store_b128 off, v[56:59], off offset:144
	scratch_store_b128 off, v[60:63], off offset:160
	.loc	1 48 21                         ; attention_bwd.py:48:21 @[ attention_bwd.py:200:26 ]
	v_cmp_ne_u32_e64 s0, 1, v66
	s_cbranch_vccnz .LBB0_6
; %bb.5:
	.loc	1 41 49                         ; attention_bwd.py:41:49 @[ attention_bwd.py:200:26 ]
	s_wait_alu depctr_sa_sdst(0)
	s_lshl_b64 s[4:5], s[12:13], 1
	s_wait_alu depctr_sa_sdst(0)
	v_add_co_u32 v66, vcc_lo, v64, s4
	s_wait_alu depctr_va_vcc(0)
	v_add_co_ci_u32_e64 v67, null, s5, v65, vcc_lo
	.loc	1 48 21                         ; attention_bwd.py:48:21 @[ attention_bwd.py:200:26 ]
	global_load_u16 v70, v[66:67], off
.Ltmp98:
.LBB0_6:
	.loc	1 0 21 is_stmt 0                ; attention_bwd.py:0:21
	scratch_load_b128 v[196:199], off, off offset:860 ; 16-byte Folded Reload
	v_dual_mov_b32 v72, 0 :: v_dual_mov_b32 v73, 0
.Ltmp99:
	.loc	1 41 67 is_stmt 1               ; attention_bwd.py:41:67 @[ attention_bwd.py:184:50 ]
	s_lshl4_add_u32 s14, s23, s10
.Ltmp100:
	.loc	1 48 21                         ; attention_bwd.py:48:21 @[ attention_bwd.py:200:26 ]
	s_and_b32 vcc_lo, exec_lo, s0
	.loc	1 41 49                         ; attention_bwd.py:41:49 @[ attention_bwd.py:200:26 ]
	s_wait_alu depctr_sa_sdst(0)
	s_ashr_i32 s15, s14, 31
	.loc	1 48 21                         ; attention_bwd.py:48:21 @[ attention_bwd.py:200:26 ]
	s_cbranch_vccnz .LBB0_8
; %bb.7:
	.loc	1 41 49                         ; attention_bwd.py:41:49 @[ attention_bwd.py:200:26 ]
	s_wait_alu depctr_sa_sdst(0)
	s_lshl_b64 s[4:5], s[14:15], 1
	s_wait_alu depctr_sa_sdst(0)
	v_add_co_u32 v66, vcc_lo, v64, s4
	s_wait_alu depctr_va_vcc(0)
	v_add_co_ci_u32_e64 v67, null, s5, v65, vcc_lo
	.loc	1 48 21                         ; attention_bwd.py:48:21 @[ attention_bwd.py:200:26 ]
	global_load_u16 v73, v[66:67], off
.Ltmp101:
.LBB0_8:
	.loc	1 41 67                         ; attention_bwd.py:41:67 @[ attention_bwd.py:184:50 ]
	s_mul_i32 s3, s23, 24
.Ltmp102:
	.loc	1 48 21                         ; attention_bwd.py:48:21 @[ attention_bwd.py:200:26 ]
	s_and_b32 vcc_lo, exec_lo, s0
.Ltmp103:
	.loc	1 41 67                         ; attention_bwd.py:41:67 @[ attention_bwd.py:184:50 ]
	s_wait_alu depctr_sa_sdst(0)
	s_add_co_i32 s16, s10, s3
.Ltmp104:
	.loc	1 41 49 is_stmt 0               ; attention_bwd.py:41:49 @[ attention_bwd.py:200:26 ]
	s_wait_alu depctr_sa_sdst(0)
	s_ashr_i32 s17, s16, 31
	.loc	1 48 21 is_stmt 1               ; attention_bwd.py:48:21 @[ attention_bwd.py:200:26 ]
	s_cbranch_vccnz .LBB0_10
; %bb.9:
	.loc	1 41 49                         ; attention_bwd.py:41:49 @[ attention_bwd.py:200:26 ]
	s_wait_alu depctr_sa_sdst(0)
	s_lshl_b64 s[4:5], s[16:17], 1
	s_wait_alu depctr_sa_sdst(0)
	v_add_co_u32 v66, vcc_lo, v64, s4
	s_wait_alu depctr_va_vcc(0)
	v_add_co_ci_u32_e64 v67, null, s5, v65, vcc_lo
	.loc	1 48 21                         ; attention_bwd.py:48:21 @[ attention_bwd.py:200:26 ]
	global_load_u16 v72, v[66:67], off
.Ltmp105:
.LBB0_10:
	.loc	1 41 67                         ; attention_bwd.py:41:67 @[ attention_bwd.py:184:50 ]
	s_lshl_b32 s3, s23, 5
	v_dual_mov_b32 v74, 0 :: v_dual_mov_b32 v75, 0
	s_wait_alu depctr_sa_sdst(0)
	s_add_co_i32 s18, s10, s3
.Ltmp106:
	.loc	1 48 21                         ; attention_bwd.py:48:21 @[ attention_bwd.py:200:26 ]
	s_and_b32 vcc_lo, exec_lo, s0
	.loc	1 41 49                         ; attention_bwd.py:41:49 @[ attention_bwd.py:200:26 ]
	s_wait_alu depctr_sa_sdst(0)
	s_ashr_i32 s19, s18, 31
	.loc	1 48 21                         ; attention_bwd.py:48:21 @[ attention_bwd.py:200:26 ]
	s_cbranch_vccnz .LBB0_12
; %bb.11:
	.loc	1 41 49                         ; attention_bwd.py:41:49 @[ attention_bwd.py:200:26 ]
	s_wait_alu depctr_sa_sdst(0)
	s_lshl_b64 s[4:5], s[18:19], 1
	s_wait_alu depctr_sa_sdst(0)
	v_add_co_u32 v66, vcc_lo, v64, s4
	s_wait_alu depctr_va_vcc(0)
	v_add_co_ci_u32_e64 v67, null, s5, v65, vcc_lo
	.loc	1 48 21                         ; attention_bwd.py:48:21 @[ attention_bwd.py:200:26 ]
	global_load_u16 v75, v[66:67], off
.Ltmp107:
.LBB0_12:
	.loc	1 41 67                         ; attention_bwd.py:41:67 @[ attention_bwd.py:184:50 ]
	s_mul_i32 s3, s23, 40
.Ltmp108:
	.loc	1 48 21                         ; attention_bwd.py:48:21 @[ attention_bwd.py:200:26 ]
	s_and_b32 vcc_lo, exec_lo, s0
.Ltmp109:
	.loc	1 41 67                         ; attention_bwd.py:41:67 @[ attention_bwd.py:184:50 ]
	s_wait_alu depctr_sa_sdst(0)
	s_add_co_i32 s42, s10, s3
.Ltmp110:
	.loc	1 41 49 is_stmt 0               ; attention_bwd.py:41:49 @[ attention_bwd.py:200:26 ]
	s_wait_alu depctr_sa_sdst(0)
	s_ashr_i32 s43, s42, 31
	.loc	1 48 21 is_stmt 1               ; attention_bwd.py:48:21 @[ attention_bwd.py:200:26 ]
	s_cbranch_vccnz .LBB0_14
; %bb.13:
	.loc	1 41 49                         ; attention_bwd.py:41:49 @[ attention_bwd.py:200:26 ]
	s_wait_alu depctr_sa_sdst(0)
	s_lshl_b64 s[4:5], s[42:43], 1
	s_wait_alu depctr_sa_sdst(0)
	v_add_co_u32 v66, vcc_lo, v64, s4
	s_wait_alu depctr_va_vcc(0)
	v_add_co_ci_u32_e64 v67, null, s5, v65, vcc_lo
	.loc	1 48 21                         ; attention_bwd.py:48:21 @[ attention_bwd.py:200:26 ]
	global_load_u16 v74, v[66:67], off
.Ltmp111:
.LBB0_14:
	.loc	1 41 67                         ; attention_bwd.py:41:67 @[ attention_bwd.py:184:50 ]
	s_mul_i32 s3, s23, 48
	v_dual_mov_b32 v76, 0 :: v_dual_mov_b32 v77, 0
	s_wait_alu depctr_sa_sdst(0)
	s_add_co_i32 s46, s10, s3
.Ltmp112:
	.loc	1 48 21                         ; attention_bwd.py:48:21 @[ attention_bwd.py:200:26 ]
	s_and_b32 vcc_lo, exec_lo, s0
	.loc	1 41 49                         ; attention_bwd.py:41:49 @[ attention_bwd.py:200:26 ]
	s_wait_alu depctr_sa_sdst(0)
	s_ashr_i32 s47, s46, 31
	.loc	1 48 21                         ; attention_bwd.py:48:21 @[ attention_bwd.py:200:26 ]
	s_cbranch_vccnz .LBB0_16
; %bb.15:
	.loc	1 41 49                         ; attention_bwd.py:41:49 @[ attention_bwd.py:200:26 ]
	s_wait_alu depctr_sa_sdst(0)
	s_lshl_b64 s[4:5], s[46:47], 1
	s_wait_alu depctr_sa_sdst(0)
	v_add_co_u32 v66, vcc_lo, v64, s4
	s_wait_alu depctr_va_vcc(0)
	v_add_co_ci_u32_e64 v67, null, s5, v65, vcc_lo
	.loc	1 48 21                         ; attention_bwd.py:48:21 @[ attention_bwd.py:200:26 ]
	global_load_u16 v77, v[66:67], off
.Ltmp113:
.LBB0_16:
	.loc	1 41 67                         ; attention_bwd.py:41:67 @[ attention_bwd.py:184:50 ]
	s_mul_i32 s3, s23, 56
.Ltmp114:
	.loc	1 48 21                         ; attention_bwd.py:48:21 @[ attention_bwd.py:200:26 ]
	s_and_b32 vcc_lo, exec_lo, s0
.Ltmp115:
	.loc	1 41 67                         ; attention_bwd.py:41:67 @[ attention_bwd.py:184:50 ]
	s_wait_alu depctr_sa_sdst(0)
	s_add_co_i32 s48, s10, s3
.Ltmp116:
	.loc	1 41 49 is_stmt 0               ; attention_bwd.py:41:49 @[ attention_bwd.py:200:26 ]
	s_wait_alu depctr_sa_sdst(0)
	s_ashr_i32 s49, s48, 31
	.loc	1 48 21 is_stmt 1               ; attention_bwd.py:48:21 @[ attention_bwd.py:200:26 ]
	s_cbranch_vccnz .LBB0_18
; %bb.17:
	.loc	1 41 49                         ; attention_bwd.py:41:49 @[ attention_bwd.py:200:26 ]
	s_wait_alu depctr_sa_sdst(0)
	s_lshl_b64 s[4:5], s[48:49], 1
	s_wait_alu depctr_sa_sdst(0)
	v_add_co_u32 v66, vcc_lo, v64, s4
	s_wait_alu depctr_va_vcc(0)
	v_add_co_ci_u32_e64 v67, null, s5, v65, vcc_lo
	.loc	1 48 21                         ; attention_bwd.py:48:21 @[ attention_bwd.py:200:26 ]
	global_load_u16 v76, v[66:67], off
.Ltmp117:
.LBB0_18:
	.loc	1 41 67                         ; attention_bwd.py:41:67 @[ attention_bwd.py:184:50 ]
	s_lshl_b32 s3, s23, 6
	v_dual_mov_b32 v78, 0 :: v_dual_mov_b32 v79, 0
	s_wait_alu depctr_sa_sdst(0)
	s_add_co_i32 s50, s10, s3
.Ltmp118:
	.loc	1 48 21                         ; attention_bwd.py:48:21 @[ attention_bwd.py:200:26 ]
	s_and_b32 vcc_lo, exec_lo, s0
	.loc	1 41 49                         ; attention_bwd.py:41:49 @[ attention_bwd.py:200:26 ]
	s_wait_alu depctr_sa_sdst(0)
	s_ashr_i32 s51, s50, 31
	.loc	1 48 21                         ; attention_bwd.py:48:21 @[ attention_bwd.py:200:26 ]
	s_cbranch_vccnz .LBB0_20
; %bb.19:
	.loc	1 41 49                         ; attention_bwd.py:41:49 @[ attention_bwd.py:200:26 ]
	s_wait_alu depctr_sa_sdst(0)
	s_lshl_b64 s[4:5], s[50:51], 1
	s_wait_alu depctr_sa_sdst(0)
	v_add_co_u32 v66, vcc_lo, v64, s4
	s_wait_alu depctr_va_vcc(0)
	v_add_co_ci_u32_e64 v67, null, s5, v65, vcc_lo
	.loc	1 48 21                         ; attention_bwd.py:48:21 @[ attention_bwd.py:200:26 ]
	global_load_u16 v79, v[66:67], off
.Ltmp119:
.LBB0_20:
	.loc	1 41 67                         ; attention_bwd.py:41:67 @[ attention_bwd.py:184:50 ]
	s_mul_i32 s3, s23, 0x48
.Ltmp120:
	.loc	1 48 21                         ; attention_bwd.py:48:21 @[ attention_bwd.py:200:26 ]
	s_and_b32 vcc_lo, exec_lo, s0
.Ltmp121:
	.loc	1 41 67                         ; attention_bwd.py:41:67 @[ attention_bwd.py:184:50 ]
	s_wait_alu depctr_sa_sdst(0)
	s_add_co_i32 s52, s10, s3
.Ltmp122:
	.loc	1 41 49 is_stmt 0               ; attention_bwd.py:41:49 @[ attention_bwd.py:200:26 ]
	s_wait_alu depctr_sa_sdst(0)
	s_ashr_i32 s53, s52, 31
	.loc	1 48 21 is_stmt 1               ; attention_bwd.py:48:21 @[ attention_bwd.py:200:26 ]
	s_cbranch_vccnz .LBB0_22
; %bb.21:
	.loc	1 41 49                         ; attention_bwd.py:41:49 @[ attention_bwd.py:200:26 ]
	s_wait_alu depctr_sa_sdst(0)
	s_lshl_b64 s[4:5], s[52:53], 1
	s_wait_alu depctr_sa_sdst(0)
	v_add_co_u32 v66, vcc_lo, v64, s4
	s_wait_alu depctr_va_vcc(0)
	v_add_co_ci_u32_e64 v67, null, s5, v65, vcc_lo
	.loc	1 48 21                         ; attention_bwd.py:48:21 @[ attention_bwd.py:200:26 ]
	global_load_u16 v78, v[66:67], off
.Ltmp123:
.LBB0_22:
	.loc	1 41 67                         ; attention_bwd.py:41:67 @[ attention_bwd.py:184:50 ]
	s_mul_i32 s3, s23, 0x50
	v_dual_mov_b32 v80, 0 :: v_dual_mov_b32 v81, 0
	s_wait_alu depctr_sa_sdst(0)
	s_add_co_i32 s54, s10, s3
.Ltmp124:
	.loc	1 48 21                         ; attention_bwd.py:48:21 @[ attention_bwd.py:200:26 ]
	s_and_b32 vcc_lo, exec_lo, s0
	.loc	1 41 49                         ; attention_bwd.py:41:49 @[ attention_bwd.py:200:26 ]
	s_wait_alu depctr_sa_sdst(0)
	s_ashr_i32 s55, s54, 31
	.loc	1 48 21                         ; attention_bwd.py:48:21 @[ attention_bwd.py:200:26 ]
	s_cbranch_vccnz .LBB0_24
; %bb.23:
	.loc	1 41 49                         ; attention_bwd.py:41:49 @[ attention_bwd.py:200:26 ]
	s_wait_alu depctr_sa_sdst(0)
	s_lshl_b64 s[4:5], s[54:55], 1
	s_wait_alu depctr_sa_sdst(0)
	v_add_co_u32 v66, vcc_lo, v64, s4
	s_wait_alu depctr_va_vcc(0)
	v_add_co_ci_u32_e64 v67, null, s5, v65, vcc_lo
	.loc	1 48 21                         ; attention_bwd.py:48:21 @[ attention_bwd.py:200:26 ]
	global_load_u16 v81, v[66:67], off
.Ltmp125:
.LBB0_24:
	.loc	1 41 67                         ; attention_bwd.py:41:67 @[ attention_bwd.py:184:50 ]
	s_mul_i32 s3, s23, 0x58
.Ltmp126:
	.loc	1 48 21                         ; attention_bwd.py:48:21 @[ attention_bwd.py:200:26 ]
	s_and_b32 vcc_lo, exec_lo, s0
.Ltmp127:
	.loc	1 41 67                         ; attention_bwd.py:41:67 @[ attention_bwd.py:184:50 ]
	s_wait_alu depctr_sa_sdst(0)
	s_add_co_i32 s56, s10, s3
.Ltmp128:
	.loc	1 41 49 is_stmt 0               ; attention_bwd.py:41:49 @[ attention_bwd.py:200:26 ]
	s_wait_alu depctr_sa_sdst(0)
	s_ashr_i32 s57, s56, 31
	.loc	1 48 21 is_stmt 1               ; attention_bwd.py:48:21 @[ attention_bwd.py:200:26 ]
	s_cbranch_vccnz .LBB0_26
; %bb.25:
	.loc	1 41 49                         ; attention_bwd.py:41:49 @[ attention_bwd.py:200:26 ]
	s_wait_alu depctr_sa_sdst(0)
	s_lshl_b64 s[4:5], s[56:57], 1
	s_wait_alu depctr_sa_sdst(0)
	v_add_co_u32 v66, vcc_lo, v64, s4
	s_wait_alu depctr_va_vcc(0)
	v_add_co_ci_u32_e64 v67, null, s5, v65, vcc_lo
	.loc	1 48 21                         ; attention_bwd.py:48:21 @[ attention_bwd.py:200:26 ]
	global_load_u16 v80, v[66:67], off
.Ltmp129:
.LBB0_26:
	.loc	1 41 67                         ; attention_bwd.py:41:67 @[ attention_bwd.py:184:50 ]
	s_mul_i32 s3, s23, 0x60
	v_dual_mov_b32 v82, 0 :: v_dual_mov_b32 v83, 0
	s_wait_alu depctr_sa_sdst(0)
	s_add_co_i32 s58, s10, s3
.Ltmp130:
	.loc	1 48 21                         ; attention_bwd.py:48:21 @[ attention_bwd.py:200:26 ]
	s_and_b32 vcc_lo, exec_lo, s0
	.loc	1 41 49                         ; attention_bwd.py:41:49 @[ attention_bwd.py:200:26 ]
	s_wait_alu depctr_sa_sdst(0)
	s_ashr_i32 s59, s58, 31
	.loc	1 48 21                         ; attention_bwd.py:48:21 @[ attention_bwd.py:200:26 ]
	s_cbranch_vccnz .LBB0_28
; %bb.27:
	.loc	1 41 49                         ; attention_bwd.py:41:49 @[ attention_bwd.py:200:26 ]
	s_wait_alu depctr_sa_sdst(0)
	s_lshl_b64 s[4:5], s[58:59], 1
	s_wait_alu depctr_sa_sdst(0)
	v_add_co_u32 v66, vcc_lo, v64, s4
	s_wait_alu depctr_va_vcc(0)
	v_add_co_ci_u32_e64 v67, null, s5, v65, vcc_lo
	.loc	1 48 21                         ; attention_bwd.py:48:21 @[ attention_bwd.py:200:26 ]
	global_load_u16 v83, v[66:67], off
.Ltmp131:
.LBB0_28:
	.loc	1 41 67                         ; attention_bwd.py:41:67 @[ attention_bwd.py:184:50 ]
	s_mul_i32 s3, s23, 0x68
.Ltmp132:
	.loc	1 48 21                         ; attention_bwd.py:48:21 @[ attention_bwd.py:200:26 ]
	s_and_b32 vcc_lo, exec_lo, s0
.Ltmp133:
	.loc	1 41 67                         ; attention_bwd.py:41:67 @[ attention_bwd.py:184:50 ]
	s_wait_alu depctr_sa_sdst(0)
	s_add_co_i32 s60, s10, s3
.Ltmp134:
	.loc	1 41 49 is_stmt 0               ; attention_bwd.py:41:49 @[ attention_bwd.py:200:26 ]
	s_wait_alu depctr_sa_sdst(0)
	s_ashr_i32 s61, s60, 31
	.loc	1 48 21 is_stmt 1               ; attention_bwd.py:48:21 @[ attention_bwd.py:200:26 ]
	s_cbranch_vccnz .LBB0_30
; %bb.29:
	.loc	1 41 49                         ; attention_bwd.py:41:49 @[ attention_bwd.py:200:26 ]
	s_wait_alu depctr_sa_sdst(0)
	s_lshl_b64 s[4:5], s[60:61], 1
	s_wait_alu depctr_sa_sdst(0)
	v_add_co_u32 v66, vcc_lo, v64, s4
	s_wait_alu depctr_va_vcc(0)
	v_add_co_ci_u32_e64 v67, null, s5, v65, vcc_lo
	.loc	1 48 21                         ; attention_bwd.py:48:21 @[ attention_bwd.py:200:26 ]
	global_load_u16 v82, v[66:67], off
.Ltmp135:
.LBB0_30:
	.loc	1 41 67                         ; attention_bwd.py:41:67 @[ attention_bwd.py:184:50 ]
	s_mul_i32 s3, s23, 0x70
	v_dual_mov_b32 v84, 0 :: v_dual_mov_b32 v85, 0
	s_wait_alu depctr_sa_sdst(0)
	s_add_co_i32 s64, s10, s3
.Ltmp136:
	.loc	1 48 21                         ; attention_bwd.py:48:21 @[ attention_bwd.py:200:26 ]
	s_and_b32 vcc_lo, exec_lo, s0
	.loc	1 41 49                         ; attention_bwd.py:41:49 @[ attention_bwd.py:200:26 ]
	s_wait_alu depctr_sa_sdst(0)
	s_ashr_i32 s65, s64, 31
	.loc	1 48 21                         ; attention_bwd.py:48:21 @[ attention_bwd.py:200:26 ]
	s_cbranch_vccnz .LBB0_32
; %bb.31:
	.loc	1 41 49                         ; attention_bwd.py:41:49 @[ attention_bwd.py:200:26 ]
	s_wait_alu depctr_sa_sdst(0)
	s_lshl_b64 s[4:5], s[64:65], 1
	s_wait_alu depctr_sa_sdst(0)
	v_add_co_u32 v66, vcc_lo, v64, s4
	s_wait_alu depctr_va_vcc(0)
	v_add_co_ci_u32_e64 v67, null, s5, v65, vcc_lo
	.loc	1 48 21                         ; attention_bwd.py:48:21 @[ attention_bwd.py:200:26 ]
	global_load_u16 v85, v[66:67], off
.Ltmp137:
.LBB0_32:
	.loc	1 41 67                         ; attention_bwd.py:41:67 @[ attention_bwd.py:184:50 ]
	s_mul_i32 s3, s23, 0x78
.Ltmp138:
	.loc	1 48 21                         ; attention_bwd.py:48:21 @[ attention_bwd.py:200:26 ]
	s_and_b32 vcc_lo, exec_lo, s0
.Ltmp139:
	.loc	1 41 67                         ; attention_bwd.py:41:67 @[ attention_bwd.py:184:50 ]
	s_wait_alu depctr_sa_sdst(0)
	s_add_co_i32 s66, s10, s3
.Ltmp140:
	.loc	1 41 49 is_stmt 0               ; attention_bwd.py:41:49 @[ attention_bwd.py:200:26 ]
	s_wait_alu depctr_sa_sdst(0)
	s_ashr_i32 s67, s66, 31
	.loc	1 48 21 is_stmt 1               ; attention_bwd.py:48:21 @[ attention_bwd.py:200:26 ]
	s_cbranch_vccz .LBB0_87
; %bb.33:
	.loc	1 0 21 is_stmt 0                ; attention_bwd.py:0:21
	v_dual_mov_b32 v86, 0 :: v_dual_mov_b32 v87, 0
	.loc	1 58 21 is_stmt 1               ; attention_bwd.py:58:21 @[ attention_bwd.py:200:26 ]
	s_and_b32 vcc_lo, exec_lo, s0
	s_wait_alu depctr_sa_sdst(0)
	s_cbranch_vccz .LBB0_88
.LBB0_34:
	s_and_b32 vcc_lo, exec_lo, s0
	s_wait_alu depctr_sa_sdst(0)
	s_cbranch_vccz .LBB0_89
.LBB0_35:
	.loc	1 0 21 is_stmt 0                ; attention_bwd.py:0:21
	v_dual_mov_b32 v88, 0 :: v_dual_mov_b32 v89, 0
	.loc	1 58 21                         ; attention_bwd.py:58:21 @[ attention_bwd.py:200:26 ]
	s_and_b32 vcc_lo, exec_lo, s0
	s_wait_alu depctr_sa_sdst(0)
	s_cbranch_vccz .LBB0_90
.LBB0_36:
	s_and_b32 vcc_lo, exec_lo, s0
	s_wait_alu depctr_sa_sdst(0)
	s_cbranch_vccz .LBB0_91
.LBB0_37:
	.loc	1 0 21                          ; attention_bwd.py:0:21
	v_dual_mov_b32 v90, 0 :: v_dual_mov_b32 v91, 0
	.loc	1 58 21                         ; attention_bwd.py:58:21 @[ attention_bwd.py:200:26 ]
	s_and_b32 vcc_lo, exec_lo, s0
	s_wait_alu depctr_sa_sdst(0)
	s_cbranch_vccz .LBB0_92
.LBB0_38:
	s_and_b32 vcc_lo, exec_lo, s0
	s_wait_alu depctr_sa_sdst(0)
	s_cbranch_vccz .LBB0_93
.LBB0_39:
	.loc	1 0 21                          ; attention_bwd.py:0:21
	v_dual_mov_b32 v92, 0 :: v_dual_mov_b32 v93, 0
	.loc	1 58 21                         ; attention_bwd.py:58:21 @[ attention_bwd.py:200:26 ]
	s_and_b32 vcc_lo, exec_lo, s0
	s_wait_alu depctr_sa_sdst(0)
	s_cbranch_vccz .LBB0_94
.LBB0_40:
	s_and_b32 vcc_lo, exec_lo, s0
	s_wait_alu depctr_sa_sdst(0)
	s_cbranch_vccz .LBB0_95
.LBB0_41:
	.loc	1 0 21                          ; attention_bwd.py:0:21
	v_dual_mov_b32 v94, 0 :: v_dual_mov_b32 v95, 0
	.loc	1 58 21                         ; attention_bwd.py:58:21 @[ attention_bwd.py:200:26 ]
	s_and_b32 vcc_lo, exec_lo, s0
	s_wait_alu depctr_sa_sdst(0)
	s_cbranch_vccz .LBB0_96
.LBB0_42:
	s_and_b32 vcc_lo, exec_lo, s0
	s_wait_alu depctr_sa_sdst(0)
	s_cbranch_vccz .LBB0_97
.LBB0_43:
	.loc	1 0 21                          ; attention_bwd.py:0:21
	v_dual_mov_b32 v97, 0 :: v_dual_mov_b32 v98, 0
	.loc	1 58 21                         ; attention_bwd.py:58:21 @[ attention_bwd.py:200:26 ]
	s_and_b32 vcc_lo, exec_lo, s0
	s_wait_alu depctr_sa_sdst(0)
	s_cbranch_vccz .LBB0_98
.LBB0_44:
	s_and_b32 vcc_lo, exec_lo, s0
	s_wait_alu depctr_sa_sdst(0)
	s_cbranch_vccz .LBB0_99
.LBB0_45:
	.loc	1 0 21                          ; attention_bwd.py:0:21
	v_dual_mov_b32 v99, 0 :: v_dual_mov_b32 v100, 0
	.loc	1 58 21                         ; attention_bwd.py:58:21 @[ attention_bwd.py:200:26 ]
	s_and_b32 vcc_lo, exec_lo, s0
	s_wait_alu depctr_sa_sdst(0)
	s_cbranch_vccz .LBB0_100
.LBB0_46:
	s_and_b32 vcc_lo, exec_lo, s0
	s_wait_alu depctr_sa_sdst(0)
	s_cbranch_vccz .LBB0_101
.LBB0_47:
	.loc	1 0 21                          ; attention_bwd.py:0:21
	v_dual_mov_b32 v101, 0 :: v_dual_mov_b32 v102, 0
	.loc	1 58 21                         ; attention_bwd.py:58:21 @[ attention_bwd.py:200:26 ]
	s_and_b32 vcc_lo, exec_lo, s0
	s_wait_alu depctr_sa_sdst(0)
	s_cbranch_vccz .LBB0_102
.LBB0_48:
	s_and_b32 vcc_lo, exec_lo, s0
	s_clause 0x1                            ; 32-byte Folded Spill
	scratch_store_b128 off, v[32:35], off offset:176
	scratch_store_b128 off, v[36:39], off offset:192
	s_wait_alu depctr_sa_sdst(0)
	s_cbranch_vccnz .LBB0_50
.LBB0_49:
	.loc	1 38 23 is_stmt 1               ; attention_bwd.py:38:23 @[ attention_bwd.py:200:26 ]
	v_readlane_b32 s3, v253, 8
	s_or_b32 s3, s3, s2
	.loc	1 42 37                         ; attention_bwd.py:42:37 @[ attention_bwd.py:200:26 ]
	s_wait_alu depctr_sa_sdst(0)
	s_mul_i32 s4, s22, s3
	.loc	1 42 19 is_stmt 0               ; attention_bwd.py:42:19 @[ attention_bwd.py:200:26 ]
	s_wait_alu depctr_sa_sdst(0)
	s_ashr_i32 s5, s4, 31
	s_wait_alu depctr_sa_sdst(0)
	s_lshl_b64 s[4:5], s[4:5], 1
	s_wait_alu depctr_sa_sdst(0)
	s_add_nc_u64 s[4:5], s[8:9], s[4:5]
	.loc	1 42 50                         ; attention_bwd.py:42:50 @[ attention_bwd.py:200:26 ]
	s_wait_alu depctr_sa_sdst(0)
	v_add_co_u32 v64, vcc_lo, s4, v211
	s_wait_alu depctr_va_vcc(0)
	v_add_co_ci_u32_e64 v65, null, s5, v212, vcc_lo
	.loc	1 58 21 is_stmt 1               ; attention_bwd.py:58:21 @[ attention_bwd.py:200:26 ]
	global_load_u16 v101, v[64:65], off
.LBB0_50:
	.loc	1 50 26                         ; attention_bwd.py:50:26 @[ attention_bwd.py:200:26 ]
	v_lshrrev_b32_e32 v13, 1, v188
	v_dual_mov_b32 v242, 0 :: v_dual_mov_b32 v165, 0
	.loc	1 51 20                         ; attention_bwd.py:51:20 @[ attention_bwd.py:200:26 ]
	s_and_b32 vcc_lo, exec_lo, s0
	s_delay_alu instid0(VALU_DEP_2) | instskip(NEXT) | instid1(VALU_DEP_1)
	.loc	1 50 26                         ; attention_bwd.py:50:26 @[ attention_bwd.py:200:26 ]
	v_or_b32_e32 v64, s2, v13
	v_ashrrev_i32_e32 v65, 31, v64
	.loc	1 51 20                         ; attention_bwd.py:51:20 @[ attention_bwd.py:200:26 ]
	s_wait_alu depctr_sa_sdst(0)
	s_cbranch_vccnz .LBB0_52
; %bb.51:
	.loc	1 0 20 is_stmt 0                ; attention_bwd.py:0:20
	s_delay_alu instid0(VALU_DEP_1) | instskip(NEXT) | instid1(VALU_DEP_1)
	v_lshlrev_b64_e32 v[66:67], 2, v[64:65]
	v_add_co_u32 v66, vcc_lo, s44, v66
	s_wait_alu depctr_va_vcc(0)
	s_delay_alu instid0(VALU_DEP_2)
	v_add_co_ci_u32_e64 v67, null, s45, v67, vcc_lo
	.loc	1 51 20                         ; attention_bwd.py:51:20 @[ attention_bwd.py:200:26 ]
	global_load_b32 v165, v[66:67], off
.LBB0_52:
	.loc	1 0 20                          ; attention_bwd.py:0:20
	v_lshrrev_b32_e32 v13, 1, v188
	.loc	1 51 24                         ; attention_bwd.py:51:24 @[ attention_bwd.py:200:26 ]
	s_ashr_i32 s3, s2, 31
	s_delay_alu instid0(VALU_DEP_1) | instskip(SKIP_2) | instid1(VALU_DEP_1)
	v_add_co_u32 v66, s2, v13, s2
	s_wait_alu depctr_sa_sdst(0) depctr_va_sdst(0)
	v_add_co_ci_u32_e64 v67, null, 0, s3, s2
	v_lshlrev_b64_e32 v[66:67], 2, v[66:67]
	s_delay_alu instid0(VALU_DEP_1) | instskip(SKIP_1) | instid1(VALU_DEP_2)
	v_add_co_u32 v68, vcc_lo, s44, v66
	s_wait_alu depctr_va_vcc(0)
	v_add_co_ci_u32_e64 v69, null, s45, v67, vcc_lo
	.loc	1 51 20                         ; attention_bwd.py:51:20 @[ attention_bwd.py:200:26 ]
	s_and_b32 vcc_lo, exec_lo, s0
	s_wait_alu depctr_sa_sdst(0)
	s_cbranch_vccz .LBB0_103
; %bb.53:
	.loc	1 0 20                          ; attention_bwd.py:0:20
	v_dual_mov_b32 v244, 0 :: v_dual_mov_b32 v243, 0
	.loc	1 51 20                         ; attention_bwd.py:51:20 @[ attention_bwd.py:200:26 ]
	s_and_b32 vcc_lo, exec_lo, s0
	s_wait_alu depctr_sa_sdst(0)
	s_cbranch_vccz .LBB0_104
.LBB0_54:
	s_and_b32 vcc_lo, exec_lo, s0
	s_wait_alu depctr_sa_sdst(0)
	s_cbranch_vccz .LBB0_105
.LBB0_55:
	.loc	1 0 20                          ; attention_bwd.py:0:20
	v_mov_b32_e32 v103, 0
	v_mov_b32_e32 v245, 0
	.loc	1 51 20                         ; attention_bwd.py:51:20 @[ attention_bwd.py:200:26 ]
	s_and_b32 vcc_lo, exec_lo, s0
	s_wait_alu depctr_sa_sdst(0)
	s_cbranch_vccz .LBB0_106
.LBB0_56:
	s_and_b32 vcc_lo, exec_lo, s0
	s_wait_alu depctr_sa_sdst(0)
	s_cbranch_vccz .LBB0_107
.LBB0_57:
	.loc	1 0 20                          ; attention_bwd.py:0:20
	v_dual_mov_b32 v105, 0 :: v_dual_mov_b32 v104, 0
	.loc	1 51 20                         ; attention_bwd.py:51:20 @[ attention_bwd.py:200:26 ]
	s_and_b32 vcc_lo, exec_lo, s0
	s_wait_alu depctr_sa_sdst(0)
	s_cbranch_vccz .LBB0_108
.LBB0_58:
	s_and_b32 vcc_lo, exec_lo, s0
	s_wait_alu depctr_sa_sdst(0)
	s_cbranch_vccz .LBB0_109
.LBB0_59:
	.loc	1 0 20                          ; attention_bwd.py:0:20
	v_dual_mov_b32 v230, 0 :: v_dual_mov_b32 v229, 0
	.loc	1 51 20                         ; attention_bwd.py:51:20 @[ attention_bwd.py:200:26 ]
	s_and_b32 vcc_lo, exec_lo, s0
	s_wait_alu depctr_sa_sdst(0)
	s_cbranch_vccz .LBB0_110
.LBB0_60:
	s_and_b32 vcc_lo, exec_lo, s0
	s_wait_alu depctr_sa_sdst(0)
	s_cbranch_vccz .LBB0_111
.LBB0_61:
	.loc	1 0 20                          ; attention_bwd.py:0:20
	v_dual_mov_b32 v232, 0 :: v_dual_mov_b32 v231, 0
	.loc	1 51 20                         ; attention_bwd.py:51:20 @[ attention_bwd.py:200:26 ]
	s_and_b32 vcc_lo, exec_lo, s0
	s_wait_alu depctr_sa_sdst(0)
	s_cbranch_vccz .LBB0_112
.LBB0_62:
	s_and_b32 vcc_lo, exec_lo, s0
	s_wait_alu depctr_sa_sdst(0)
	s_cbranch_vccz .LBB0_113
.LBB0_63:
	.loc	1 0 20                          ; attention_bwd.py:0:20
	v_dual_mov_b32 v58, 0 :: v_dual_mov_b32 v57, 0
	.loc	1 51 20                         ; attention_bwd.py:51:20 @[ attention_bwd.py:200:26 ]
	s_and_b32 vcc_lo, exec_lo, s0
	s_wait_alu depctr_sa_sdst(0)
	s_cbranch_vccz .LBB0_114
.LBB0_64:
	s_and_b32 vcc_lo, exec_lo, s0
	s_wait_alu depctr_sa_sdst(0)
	s_cbranch_vccz .LBB0_115
.LBB0_65:
	.loc	1 0 20                          ; attention_bwd.py:0:20
	v_dual_mov_b32 v60, 0 :: v_dual_mov_b32 v59, 0
	.loc	1 51 20                         ; attention_bwd.py:51:20 @[ attention_bwd.py:200:26 ]
	s_and_b32 vcc_lo, exec_lo, s0
	s_wait_alu depctr_sa_sdst(0)
	s_cbranch_vccz .LBB0_116
.LBB0_66:
	s_and_b32 vcc_lo, exec_lo, s0
	s_wait_alu depctr_sa_sdst(0)
	s_cbranch_vccz .LBB0_117
.LBB0_67:
	.loc	1 0 20                          ; attention_bwd.py:0:20
	v_dual_mov_b32 v168, 0 :: v_dual_mov_b32 v13, 0
	.loc	1 64 21 is_stmt 1               ; attention_bwd.py:64:21 @[ attention_bwd.py:200:26 ]
	s_and_b32 vcc_lo, exec_lo, s0
	s_wait_alu depctr_sa_sdst(0)
	s_cbranch_vccz .LBB0_118
.LBB0_68:
	.loc	1 64 25 is_stmt 0               ; attention_bwd.py:64:25 @[ attention_bwd.py:200:26 ]
	v_add_co_u32 v64, vcc_lo, s6, v66
	s_wait_alu depctr_va_vcc(0)
	v_add_co_ci_u32_e64 v65, null, s7, v67, vcc_lo
	.loc	1 64 21                         ; attention_bwd.py:64:21 @[ attention_bwd.py:200:26 ]
	s_and_b32 vcc_lo, exec_lo, s0
	s_wait_alu depctr_sa_sdst(0)
	s_cbranch_vccz .LBB0_119
.LBB0_69:
	.loc	1 0 21                          ; attention_bwd.py:0:21
	v_dual_mov_b32 v170, 0 :: v_dual_mov_b32 v169, 0
	.loc	1 64 21                         ; attention_bwd.py:64:21 @[ attention_bwd.py:200:26 ]
	s_and_b32 vcc_lo, exec_lo, s0
	s_wait_alu depctr_sa_sdst(0)
	s_cbranch_vccz .LBB0_120
.LBB0_70:
	s_and_b32 vcc_lo, exec_lo, s0
	s_wait_alu depctr_sa_sdst(0)
	s_cbranch_vccz .LBB0_121
.LBB0_71:
	.loc	1 0 21                          ; attention_bwd.py:0:21
	v_dual_mov_b32 v66, 0 :: v_dual_mov_b32 v171, 0
	.loc	1 64 21                         ; attention_bwd.py:64:21 @[ attention_bwd.py:200:26 ]
	s_and_b32 vcc_lo, exec_lo, s0
	s_wait_alu depctr_sa_sdst(0)
	s_cbranch_vccz .LBB0_122
.LBB0_72:
	s_and_b32 vcc_lo, exec_lo, s0
	s_wait_alu depctr_sa_sdst(0)
	s_cbranch_vccz .LBB0_123
.LBB0_73:
	.loc	1 0 21                          ; attention_bwd.py:0:21
	v_dual_mov_b32 v68, 0 :: v_dual_mov_b32 v67, 0
	.loc	1 64 21                         ; attention_bwd.py:64:21 @[ attention_bwd.py:200:26 ]
	s_and_b32 vcc_lo, exec_lo, s0
	s_wait_alu depctr_sa_sdst(0)
	s_cbranch_vccnz .LBB0_75
.LBB0_74:
	global_load_b32 v67, v[64:65], off offset:24
.LBB0_75:
	.loc	1 0 21                          ; attention_bwd.py:0:21
	s_wait_loadcnt 0x0
	v_dual_mov_b32 v36, v229 :: v_dual_mov_b32 v37, v230
	v_dual_mov_b32 v38, v231 :: v_dual_mov_b32 v39, v232
	.loc	1 64 21                         ; attention_bwd.py:64:21 @[ attention_bwd.py:200:26 ]
	s_and_b32 vcc_lo, exec_lo, s0
	s_wait_alu depctr_sa_sdst(0)
	s_cbranch_vccz .LBB0_124
; %bb.76:
	.loc	1 0 21                          ; attention_bwd.py:0:21
	v_dual_mov_b32 v222, 0 :: v_dual_mov_b32 v221, 0
	.loc	1 64 21                         ; attention_bwd.py:64:21 @[ attention_bwd.py:200:26 ]
	s_and_b32 vcc_lo, exec_lo, s0
	s_wait_alu depctr_sa_sdst(0)
	s_cbranch_vccz .LBB0_125
.LBB0_77:
	s_and_b32 vcc_lo, exec_lo, s0
	s_wait_alu depctr_sa_sdst(0)
	s_cbranch_vccz .LBB0_126
.LBB0_78:
	.loc	1 0 21                          ; attention_bwd.py:0:21
	v_dual_mov_b32 v224, 0 :: v_dual_mov_b32 v223, 0
	.loc	1 64 21                         ; attention_bwd.py:64:21 @[ attention_bwd.py:200:26 ]
	s_and_b32 vcc_lo, exec_lo, s0
	s_wait_alu depctr_sa_sdst(0)
	s_cbranch_vccz .LBB0_127
.LBB0_79:
	s_and_b32 vcc_lo, exec_lo, s0
	s_wait_alu depctr_sa_sdst(0)
	s_cbranch_vccz .LBB0_128
.LBB0_80:
	.loc	1 0 21                          ; attention_bwd.py:0:21
	v_dual_mov_b32 v162, 0 :: v_dual_mov_b32 v161, 0
	.loc	1 64 21                         ; attention_bwd.py:64:21 @[ attention_bwd.py:200:26 ]
	s_and_b32 vcc_lo, exec_lo, s0
	s_wait_alu depctr_sa_sdst(0)
	s_cbranch_vccz .LBB0_129
.LBB0_81:
	s_and_b32 vcc_lo, exec_lo, s0
	s_wait_alu depctr_sa_sdst(0)
	s_cbranch_vccz .LBB0_130
.LBB0_82:
	.loc	1 0 21                          ; attention_bwd.py:0:21
	v_dual_mov_b32 v164, 0 :: v_dual_mov_b32 v163, 0
	.loc	1 64 21                         ; attention_bwd.py:64:21 @[ attention_bwd.py:200:26 ]
	s_and_b32 vcc_lo, exec_lo, s0
	s_wait_alu depctr_sa_sdst(0)
	s_cbranch_vccz .LBB0_131
.LBB0_83:
	s_and_b32 vcc_lo, exec_lo, s0
	s_wait_alu depctr_sa_sdst(0)
	s_cbranch_vccnz .LBB0_85
.LBB0_84:
	global_load_b32 v164, v[64:65], off offset:92
.LBB0_85:
	.loc	1 48 21 is_stmt 1               ; attention_bwd.py:48:21 @[ attention_bwd.py:200:26 ]
	ds_store_b16 v252, v71
	ds_store_b16 v252, v70 offset:512
	ds_store_b16 v252, v73 offset:1024
	;; [unrolled: 1-line block ×15, first 2 shown]
	.loc	1 58 21                         ; attention_bwd.py:58:21 @[ attention_bwd.py:200:26 ]
	s_wait_storecnt 0x0
	s_wait_loadcnt_dscnt 0x0
	s_barrier_signal -1
	v_lshlrev_b32_e32 v73, 6, v15
	.loc	1 47 25                         ; attention_bwd.py:47:25 @[ attention_bwd.py:200:26 ]
	s_cmp_gt_i32 s1, 63
	.loc	1 58 21                         ; attention_bwd.py:58:21 @[ attention_bwd.py:200:26 ]
	s_barrier_wait -1
	global_inv scope:SCOPE_SE
	ds_store_b16 v252, v87 offset:8192
	ds_store_b16 v252, v86 offset:8704
	;; [unrolled: 1-line block ×16, first 2 shown]
	.loc	1 47 25                         ; attention_bwd.py:47:25 @[ attention_bwd.py:200:26 ]
	s_cbranch_scc1 .LBB0_132
; %bb.86:                               ; %.._crit_edge_crit_edge
	.loc	1 69 26                         ; attention_bwd.py:69:26 @[ attention_bwd.py:200:26 ]
	v_lshlrev_b32_e32 v64, 6, v15
	s_mov_b32 s2, 0
	s_branch .LBB0_133
.LBB0_87:
	.loc	1 41 49                         ; attention_bwd.py:41:49 @[ attention_bwd.py:200:26 ]
	s_wait_alu depctr_sa_sdst(0)
	s_lshl_b64 s[4:5], s[66:67], 1
	s_wait_alu depctr_sa_sdst(0)
	v_add_co_u32 v64, vcc_lo, v64, s4
	s_wait_alu depctr_va_vcc(0)
	v_add_co_ci_u32_e64 v65, null, s5, v65, vcc_lo
	.loc	1 48 21                         ; attention_bwd.py:48:21 @[ attention_bwd.py:200:26 ]
	global_load_u16 v84, v[64:65], off
	v_dual_mov_b32 v86, 0 :: v_dual_mov_b32 v87, 0
	.loc	1 58 21                         ; attention_bwd.py:58:21 @[ attention_bwd.py:200:26 ]
	s_and_b32 vcc_lo, exec_lo, s0
	s_wait_alu depctr_sa_sdst(0)
	s_cbranch_vccnz .LBB0_34
.LBB0_88:
	.loc	1 38 23                         ; attention_bwd.py:38:23 @[ attention_bwd.py:200:26 ]
	s_or_b32 s3, s2, s81
	.loc	1 42 37                         ; attention_bwd.py:42:37 @[ attention_bwd.py:200:26 ]
	s_wait_alu depctr_sa_sdst(0)
	s_mul_i32 s4, s22, s3
	.loc	1 42 19 is_stmt 0               ; attention_bwd.py:42:19 @[ attention_bwd.py:200:26 ]
	s_wait_alu depctr_sa_sdst(0)
	s_ashr_i32 s5, s4, 31
	s_wait_alu depctr_sa_sdst(0)
	s_lshl_b64 s[4:5], s[4:5], 1
	s_wait_alu depctr_sa_sdst(0)
	s_add_nc_u64 s[4:5], s[8:9], s[4:5]
	.loc	1 42 50                         ; attention_bwd.py:42:50 @[ attention_bwd.py:200:26 ]
	s_wait_alu depctr_sa_sdst(0)
	v_add_co_u32 v64, vcc_lo, s4, v211
	s_wait_alu depctr_va_vcc(0)
	v_add_co_ci_u32_e64 v65, null, s5, v212, vcc_lo
	.loc	1 58 21 is_stmt 1               ; attention_bwd.py:58:21 @[ attention_bwd.py:200:26 ]
	global_load_u16 v87, v[64:65], off
	s_and_b32 vcc_lo, exec_lo, s0
	s_wait_alu depctr_sa_sdst(0)
	s_cbranch_vccnz .LBB0_35
.LBB0_89:
	.loc	1 38 23                         ; attention_bwd.py:38:23 @[ attention_bwd.py:200:26 ]
	s_or_b32 s3, s80, s2
	.loc	1 42 37                         ; attention_bwd.py:42:37 @[ attention_bwd.py:200:26 ]
	s_wait_alu depctr_sa_sdst(0)
	s_mul_i32 s4, s22, s3
	.loc	1 42 19 is_stmt 0               ; attention_bwd.py:42:19 @[ attention_bwd.py:200:26 ]
	s_wait_alu depctr_sa_sdst(0)
	s_ashr_i32 s5, s4, 31
	s_wait_alu depctr_sa_sdst(0)
	s_lshl_b64 s[4:5], s[4:5], 1
	s_wait_alu depctr_sa_sdst(0)
	s_add_nc_u64 s[4:5], s[8:9], s[4:5]
	.loc	1 42 50                         ; attention_bwd.py:42:50 @[ attention_bwd.py:200:26 ]
	s_wait_alu depctr_sa_sdst(0)
	v_add_co_u32 v64, vcc_lo, s4, v211
	s_wait_alu depctr_va_vcc(0)
	v_add_co_ci_u32_e64 v65, null, s5, v212, vcc_lo
	.loc	1 58 21 is_stmt 1               ; attention_bwd.py:58:21 @[ attention_bwd.py:200:26 ]
	global_load_u16 v86, v[64:65], off
	v_dual_mov_b32 v88, 0 :: v_dual_mov_b32 v89, 0
	s_and_b32 vcc_lo, exec_lo, s0
	s_wait_alu depctr_sa_sdst(0)
	s_cbranch_vccnz .LBB0_36
.LBB0_90:
	.loc	1 38 23                         ; attention_bwd.py:38:23 @[ attention_bwd.py:200:26 ]
	s_or_b32 s3, s79, s2
	.loc	1 42 37                         ; attention_bwd.py:42:37 @[ attention_bwd.py:200:26 ]
	s_wait_alu depctr_sa_sdst(0)
	s_mul_i32 s4, s22, s3
	.loc	1 42 19 is_stmt 0               ; attention_bwd.py:42:19 @[ attention_bwd.py:200:26 ]
	s_wait_alu depctr_sa_sdst(0)
	s_ashr_i32 s5, s4, 31
	s_wait_alu depctr_sa_sdst(0)
	s_lshl_b64 s[4:5], s[4:5], 1
	s_wait_alu depctr_sa_sdst(0)
	s_add_nc_u64 s[4:5], s[8:9], s[4:5]
	.loc	1 42 50                         ; attention_bwd.py:42:50 @[ attention_bwd.py:200:26 ]
	s_wait_alu depctr_sa_sdst(0)
	v_add_co_u32 v64, vcc_lo, s4, v211
	s_wait_alu depctr_va_vcc(0)
	v_add_co_ci_u32_e64 v65, null, s5, v212, vcc_lo
	.loc	1 58 21 is_stmt 1               ; attention_bwd.py:58:21 @[ attention_bwd.py:200:26 ]
	global_load_u16 v89, v[64:65], off
	s_and_b32 vcc_lo, exec_lo, s0
	s_wait_alu depctr_sa_sdst(0)
	s_cbranch_vccnz .LBB0_37
.LBB0_91:
	.loc	1 38 23                         ; attention_bwd.py:38:23 @[ attention_bwd.py:200:26 ]
	s_or_b32 s3, s78, s2
	.loc	1 42 37                         ; attention_bwd.py:42:37 @[ attention_bwd.py:200:26 ]
	s_wait_alu depctr_sa_sdst(0)
	s_mul_i32 s4, s22, s3
	.loc	1 42 19 is_stmt 0               ; attention_bwd.py:42:19 @[ attention_bwd.py:200:26 ]
	s_wait_alu depctr_sa_sdst(0)
	s_ashr_i32 s5, s4, 31
	s_wait_alu depctr_sa_sdst(0)
	s_lshl_b64 s[4:5], s[4:5], 1
	s_wait_alu depctr_sa_sdst(0)
	s_add_nc_u64 s[4:5], s[8:9], s[4:5]
	.loc	1 42 50                         ; attention_bwd.py:42:50 @[ attention_bwd.py:200:26 ]
	s_wait_alu depctr_sa_sdst(0)
	v_add_co_u32 v64, vcc_lo, s4, v211
	s_wait_alu depctr_va_vcc(0)
	v_add_co_ci_u32_e64 v65, null, s5, v212, vcc_lo
	.loc	1 58 21 is_stmt 1               ; attention_bwd.py:58:21 @[ attention_bwd.py:200:26 ]
	global_load_u16 v88, v[64:65], off
	v_dual_mov_b32 v90, 0 :: v_dual_mov_b32 v91, 0
	s_and_b32 vcc_lo, exec_lo, s0
	s_wait_alu depctr_sa_sdst(0)
	s_cbranch_vccnz .LBB0_38
.LBB0_92:
	.loc	1 38 23                         ; attention_bwd.py:38:23 @[ attention_bwd.py:200:26 ]
	s_or_b32 s3, s77, s2
	.loc	1 42 37                         ; attention_bwd.py:42:37 @[ attention_bwd.py:200:26 ]
	s_wait_alu depctr_sa_sdst(0)
	s_mul_i32 s4, s22, s3
	.loc	1 42 19 is_stmt 0               ; attention_bwd.py:42:19 @[ attention_bwd.py:200:26 ]
	s_wait_alu depctr_sa_sdst(0)
	s_ashr_i32 s5, s4, 31
	s_wait_alu depctr_sa_sdst(0)
	s_lshl_b64 s[4:5], s[4:5], 1
	s_wait_alu depctr_sa_sdst(0)
	s_add_nc_u64 s[4:5], s[8:9], s[4:5]
	.loc	1 42 50                         ; attention_bwd.py:42:50 @[ attention_bwd.py:200:26 ]
	s_wait_alu depctr_sa_sdst(0)
	v_add_co_u32 v64, vcc_lo, s4, v211
	s_wait_alu depctr_va_vcc(0)
	v_add_co_ci_u32_e64 v65, null, s5, v212, vcc_lo
	.loc	1 58 21 is_stmt 1               ; attention_bwd.py:58:21 @[ attention_bwd.py:200:26 ]
	global_load_u16 v91, v[64:65], off
	s_and_b32 vcc_lo, exec_lo, s0
	s_wait_alu depctr_sa_sdst(0)
	s_cbranch_vccnz .LBB0_39
.LBB0_93:
	.loc	1 38 23                         ; attention_bwd.py:38:23 @[ attention_bwd.py:200:26 ]
	s_or_b32 s3, s76, s2
	.loc	1 42 37                         ; attention_bwd.py:42:37 @[ attention_bwd.py:200:26 ]
	s_wait_alu depctr_sa_sdst(0)
	s_mul_i32 s4, s22, s3
	.loc	1 42 19 is_stmt 0               ; attention_bwd.py:42:19 @[ attention_bwd.py:200:26 ]
	s_wait_alu depctr_sa_sdst(0)
	s_ashr_i32 s5, s4, 31
	s_wait_alu depctr_sa_sdst(0)
	s_lshl_b64 s[4:5], s[4:5], 1
	s_wait_alu depctr_sa_sdst(0)
	s_add_nc_u64 s[4:5], s[8:9], s[4:5]
	.loc	1 42 50                         ; attention_bwd.py:42:50 @[ attention_bwd.py:200:26 ]
	s_wait_alu depctr_sa_sdst(0)
	v_add_co_u32 v64, vcc_lo, s4, v211
	s_wait_alu depctr_va_vcc(0)
	v_add_co_ci_u32_e64 v65, null, s5, v212, vcc_lo
	.loc	1 58 21 is_stmt 1               ; attention_bwd.py:58:21 @[ attention_bwd.py:200:26 ]
	global_load_u16 v90, v[64:65], off
	v_dual_mov_b32 v92, 0 :: v_dual_mov_b32 v93, 0
	s_and_b32 vcc_lo, exec_lo, s0
	s_wait_alu depctr_sa_sdst(0)
	s_cbranch_vccnz .LBB0_40
.LBB0_94:
	.loc	1 38 23                         ; attention_bwd.py:38:23 @[ attention_bwd.py:200:26 ]
	s_or_b32 s3, s31, s2
	.loc	1 42 37                         ; attention_bwd.py:42:37 @[ attention_bwd.py:200:26 ]
	s_wait_alu depctr_sa_sdst(0)
	s_mul_i32 s4, s22, s3
	.loc	1 42 19 is_stmt 0               ; attention_bwd.py:42:19 @[ attention_bwd.py:200:26 ]
	s_wait_alu depctr_sa_sdst(0)
	s_ashr_i32 s5, s4, 31
	s_wait_alu depctr_sa_sdst(0)
	s_lshl_b64 s[4:5], s[4:5], 1
	s_wait_alu depctr_sa_sdst(0)
	s_add_nc_u64 s[4:5], s[8:9], s[4:5]
	.loc	1 42 50                         ; attention_bwd.py:42:50 @[ attention_bwd.py:200:26 ]
	s_wait_alu depctr_sa_sdst(0)
	v_add_co_u32 v64, vcc_lo, s4, v211
	s_wait_alu depctr_va_vcc(0)
	v_add_co_ci_u32_e64 v65, null, s5, v212, vcc_lo
	.loc	1 58 21 is_stmt 1               ; attention_bwd.py:58:21 @[ attention_bwd.py:200:26 ]
	global_load_u16 v93, v[64:65], off
	s_and_b32 vcc_lo, exec_lo, s0
	s_wait_alu depctr_sa_sdst(0)
	s_cbranch_vccnz .LBB0_41
.LBB0_95:
	.loc	1 38 23                         ; attention_bwd.py:38:23 @[ attention_bwd.py:200:26 ]
	s_or_b32 s3, vcc_hi, s2
	.loc	1 42 37                         ; attention_bwd.py:42:37 @[ attention_bwd.py:200:26 ]
	s_wait_alu depctr_sa_sdst(0)
	s_mul_i32 s4, s22, s3
	.loc	1 42 19 is_stmt 0               ; attention_bwd.py:42:19 @[ attention_bwd.py:200:26 ]
	s_wait_alu depctr_sa_sdst(0)
	s_ashr_i32 s5, s4, 31
	s_wait_alu depctr_sa_sdst(0)
	s_lshl_b64 s[4:5], s[4:5], 1
	s_wait_alu depctr_sa_sdst(0)
	s_add_nc_u64 s[4:5], s[8:9], s[4:5]
	.loc	1 42 50                         ; attention_bwd.py:42:50 @[ attention_bwd.py:200:26 ]
	s_wait_alu depctr_sa_sdst(0)
	v_add_co_u32 v64, vcc_lo, s4, v211
	s_wait_alu depctr_va_vcc(0)
	v_add_co_ci_u32_e64 v65, null, s5, v212, vcc_lo
	.loc	1 58 21 is_stmt 1               ; attention_bwd.py:58:21 @[ attention_bwd.py:200:26 ]
	global_load_u16 v92, v[64:65], off
	v_dual_mov_b32 v94, 0 :: v_dual_mov_b32 v95, 0
	s_and_b32 vcc_lo, exec_lo, s0
	s_wait_alu depctr_sa_sdst(0)
	s_cbranch_vccnz .LBB0_42
.LBB0_96:
	.loc	1 38 23                         ; attention_bwd.py:38:23 @[ attention_bwd.py:200:26 ]
	v_readlane_b32 s3, v253, 0
	s_or_b32 s3, s3, s2
	.loc	1 42 37                         ; attention_bwd.py:42:37 @[ attention_bwd.py:200:26 ]
	s_wait_alu depctr_sa_sdst(0)
	s_mul_i32 s4, s22, s3
	.loc	1 42 19 is_stmt 0               ; attention_bwd.py:42:19 @[ attention_bwd.py:200:26 ]
	s_wait_alu depctr_sa_sdst(0)
	s_ashr_i32 s5, s4, 31
	s_wait_alu depctr_sa_sdst(0)
	s_lshl_b64 s[4:5], s[4:5], 1
	s_wait_alu depctr_sa_sdst(0)
	s_add_nc_u64 s[4:5], s[8:9], s[4:5]
	.loc	1 42 50                         ; attention_bwd.py:42:50 @[ attention_bwd.py:200:26 ]
	s_wait_alu depctr_sa_sdst(0)
	v_add_co_u32 v64, vcc_lo, s4, v211
	s_wait_alu depctr_va_vcc(0)
	v_add_co_ci_u32_e64 v65, null, s5, v212, vcc_lo
	.loc	1 58 21 is_stmt 1               ; attention_bwd.py:58:21 @[ attention_bwd.py:200:26 ]
	global_load_u16 v95, v[64:65], off
	s_and_b32 vcc_lo, exec_lo, s0
	s_wait_alu depctr_sa_sdst(0)
	s_cbranch_vccnz .LBB0_43
.LBB0_97:
	.loc	1 38 23                         ; attention_bwd.py:38:23 @[ attention_bwd.py:200:26 ]
	v_readlane_b32 s3, v253, 1
	s_or_b32 s3, s3, s2
	.loc	1 42 37                         ; attention_bwd.py:42:37 @[ attention_bwd.py:200:26 ]
	s_wait_alu depctr_sa_sdst(0)
	s_mul_i32 s4, s22, s3
	.loc	1 42 19 is_stmt 0               ; attention_bwd.py:42:19 @[ attention_bwd.py:200:26 ]
	s_wait_alu depctr_sa_sdst(0)
	s_ashr_i32 s5, s4, 31
	s_wait_alu depctr_sa_sdst(0)
	s_lshl_b64 s[4:5], s[4:5], 1
	s_wait_alu depctr_sa_sdst(0)
	s_add_nc_u64 s[4:5], s[8:9], s[4:5]
	.loc	1 42 50                         ; attention_bwd.py:42:50 @[ attention_bwd.py:200:26 ]
	s_wait_alu depctr_sa_sdst(0)
	v_add_co_u32 v64, vcc_lo, s4, v211
	s_wait_alu depctr_va_vcc(0)
	v_add_co_ci_u32_e64 v65, null, s5, v212, vcc_lo
	.loc	1 58 21 is_stmt 1               ; attention_bwd.py:58:21 @[ attention_bwd.py:200:26 ]
	global_load_u16 v94, v[64:65], off
	v_dual_mov_b32 v97, 0 :: v_dual_mov_b32 v98, 0
	s_and_b32 vcc_lo, exec_lo, s0
	s_wait_alu depctr_sa_sdst(0)
	s_cbranch_vccnz .LBB0_44
.LBB0_98:
	.loc	1 38 23                         ; attention_bwd.py:38:23 @[ attention_bwd.py:200:26 ]
	v_readlane_b32 s3, v253, 2
	s_or_b32 s3, s3, s2
	.loc	1 42 37                         ; attention_bwd.py:42:37 @[ attention_bwd.py:200:26 ]
	s_wait_alu depctr_sa_sdst(0)
	s_mul_i32 s4, s22, s3
	.loc	1 42 19 is_stmt 0               ; attention_bwd.py:42:19 @[ attention_bwd.py:200:26 ]
	s_wait_alu depctr_sa_sdst(0)
	s_ashr_i32 s5, s4, 31
	s_wait_alu depctr_sa_sdst(0)
	s_lshl_b64 s[4:5], s[4:5], 1
	s_wait_alu depctr_sa_sdst(0)
	s_add_nc_u64 s[4:5], s[8:9], s[4:5]
	.loc	1 42 50                         ; attention_bwd.py:42:50 @[ attention_bwd.py:200:26 ]
	s_wait_alu depctr_sa_sdst(0)
	v_add_co_u32 v64, vcc_lo, s4, v211
	s_wait_alu depctr_va_vcc(0)
	v_add_co_ci_u32_e64 v65, null, s5, v212, vcc_lo
	.loc	1 58 21 is_stmt 1               ; attention_bwd.py:58:21 @[ attention_bwd.py:200:26 ]
	global_load_u16 v98, v[64:65], off
	s_and_b32 vcc_lo, exec_lo, s0
	s_wait_alu depctr_sa_sdst(0)
	s_cbranch_vccnz .LBB0_45
.LBB0_99:
	.loc	1 38 23                         ; attention_bwd.py:38:23 @[ attention_bwd.py:200:26 ]
	v_readlane_b32 s3, v253, 3
	s_or_b32 s3, s3, s2
	.loc	1 42 37                         ; attention_bwd.py:42:37 @[ attention_bwd.py:200:26 ]
	s_wait_alu depctr_sa_sdst(0)
	s_mul_i32 s4, s22, s3
	.loc	1 42 19 is_stmt 0               ; attention_bwd.py:42:19 @[ attention_bwd.py:200:26 ]
	s_wait_alu depctr_sa_sdst(0)
	s_ashr_i32 s5, s4, 31
	s_wait_alu depctr_sa_sdst(0)
	s_lshl_b64 s[4:5], s[4:5], 1
	s_wait_alu depctr_sa_sdst(0)
	s_add_nc_u64 s[4:5], s[8:9], s[4:5]
	.loc	1 42 50                         ; attention_bwd.py:42:50 @[ attention_bwd.py:200:26 ]
	s_wait_alu depctr_sa_sdst(0)
	v_add_co_u32 v64, vcc_lo, s4, v211
	s_wait_alu depctr_va_vcc(0)
	v_add_co_ci_u32_e64 v65, null, s5, v212, vcc_lo
	.loc	1 58 21 is_stmt 1               ; attention_bwd.py:58:21 @[ attention_bwd.py:200:26 ]
	global_load_u16 v97, v[64:65], off
	v_dual_mov_b32 v99, 0 :: v_dual_mov_b32 v100, 0
	s_and_b32 vcc_lo, exec_lo, s0
	s_wait_alu depctr_sa_sdst(0)
	s_cbranch_vccnz .LBB0_46
.LBB0_100:
	.loc	1 38 23                         ; attention_bwd.py:38:23 @[ attention_bwd.py:200:26 ]
	v_readlane_b32 s3, v253, 4
	s_or_b32 s3, s3, s2
	.loc	1 42 37                         ; attention_bwd.py:42:37 @[ attention_bwd.py:200:26 ]
	s_wait_alu depctr_sa_sdst(0)
	s_mul_i32 s4, s22, s3
	.loc	1 42 19 is_stmt 0               ; attention_bwd.py:42:19 @[ attention_bwd.py:200:26 ]
	s_wait_alu depctr_sa_sdst(0)
	s_ashr_i32 s5, s4, 31
	s_wait_alu depctr_sa_sdst(0)
	s_lshl_b64 s[4:5], s[4:5], 1
	s_wait_alu depctr_sa_sdst(0)
	s_add_nc_u64 s[4:5], s[8:9], s[4:5]
	.loc	1 42 50                         ; attention_bwd.py:42:50 @[ attention_bwd.py:200:26 ]
	s_wait_alu depctr_sa_sdst(0)
	v_add_co_u32 v64, vcc_lo, s4, v211
	s_wait_alu depctr_va_vcc(0)
	v_add_co_ci_u32_e64 v65, null, s5, v212, vcc_lo
	.loc	1 58 21 is_stmt 1               ; attention_bwd.py:58:21 @[ attention_bwd.py:200:26 ]
	global_load_u16 v100, v[64:65], off
	s_and_b32 vcc_lo, exec_lo, s0
	s_wait_alu depctr_sa_sdst(0)
	s_cbranch_vccnz .LBB0_47
.LBB0_101:
	.loc	1 38 23                         ; attention_bwd.py:38:23 @[ attention_bwd.py:200:26 ]
	v_readlane_b32 s3, v253, 5
	s_or_b32 s3, s3, s2
	.loc	1 42 37                         ; attention_bwd.py:42:37 @[ attention_bwd.py:200:26 ]
	s_wait_alu depctr_sa_sdst(0)
	s_mul_i32 s4, s22, s3
	.loc	1 42 19 is_stmt 0               ; attention_bwd.py:42:19 @[ attention_bwd.py:200:26 ]
	s_wait_alu depctr_sa_sdst(0)
	s_ashr_i32 s5, s4, 31
	s_wait_alu depctr_sa_sdst(0)
	s_lshl_b64 s[4:5], s[4:5], 1
	s_wait_alu depctr_sa_sdst(0)
	s_add_nc_u64 s[4:5], s[8:9], s[4:5]
	.loc	1 42 50                         ; attention_bwd.py:42:50 @[ attention_bwd.py:200:26 ]
	s_wait_alu depctr_sa_sdst(0)
	v_add_co_u32 v64, vcc_lo, s4, v211
	s_wait_alu depctr_va_vcc(0)
	v_add_co_ci_u32_e64 v65, null, s5, v212, vcc_lo
	.loc	1 58 21 is_stmt 1               ; attention_bwd.py:58:21 @[ attention_bwd.py:200:26 ]
	global_load_u16 v99, v[64:65], off
	v_dual_mov_b32 v101, 0 :: v_dual_mov_b32 v102, 0
	s_and_b32 vcc_lo, exec_lo, s0
	s_wait_alu depctr_sa_sdst(0)
	s_cbranch_vccnz .LBB0_48
.LBB0_102:
	.loc	1 38 23                         ; attention_bwd.py:38:23 @[ attention_bwd.py:200:26 ]
	v_readlane_b32 s3, v253, 6
	s_or_b32 s3, s3, s2
	.loc	1 42 37                         ; attention_bwd.py:42:37 @[ attention_bwd.py:200:26 ]
	s_wait_alu depctr_sa_sdst(0)
	s_mul_i32 s4, s22, s3
	.loc	1 42 19 is_stmt 0               ; attention_bwd.py:42:19 @[ attention_bwd.py:200:26 ]
	s_wait_alu depctr_sa_sdst(0)
	s_ashr_i32 s5, s4, 31
	s_wait_alu depctr_sa_sdst(0)
	s_lshl_b64 s[4:5], s[4:5], 1
	s_wait_alu depctr_sa_sdst(0)
	s_add_nc_u64 s[4:5], s[8:9], s[4:5]
	.loc	1 42 50                         ; attention_bwd.py:42:50 @[ attention_bwd.py:200:26 ]
	s_wait_alu depctr_sa_sdst(0)
	v_add_co_u32 v64, vcc_lo, s4, v211
	s_wait_alu depctr_va_vcc(0)
	v_add_co_ci_u32_e64 v65, null, s5, v212, vcc_lo
	.loc	1 58 21 is_stmt 1               ; attention_bwd.py:58:21 @[ attention_bwd.py:200:26 ]
	global_load_u16 v102, v[64:65], off
	s_and_b32 vcc_lo, exec_lo, s0
	s_clause 0x1                            ; 32-byte Folded Spill
	scratch_store_b128 off, v[32:35], off offset:176
	scratch_store_b128 off, v[36:39], off offset:192
	s_wait_alu depctr_sa_sdst(0)
	s_cbranch_vccz .LBB0_49
	s_branch .LBB0_50
.LBB0_103:
	.loc	1 51 20                         ; attention_bwd.py:51:20 @[ attention_bwd.py:200:26 ]
	global_load_b32 v242, v[68:69], off offset:4
	v_dual_mov_b32 v244, 0 :: v_dual_mov_b32 v243, 0
	s_and_b32 vcc_lo, exec_lo, s0
	s_wait_alu depctr_sa_sdst(0)
	s_cbranch_vccnz .LBB0_54
.LBB0_104:
	global_load_b32 v243, v[68:69], off offset:8
	s_and_b32 vcc_lo, exec_lo, s0
	s_wait_alu depctr_sa_sdst(0)
	s_cbranch_vccnz .LBB0_55
.LBB0_105:
	global_load_b32 v244, v[68:69], off offset:12
	v_mov_b32_e32 v103, 0
	v_mov_b32_e32 v245, 0
	s_and_b32 vcc_lo, exec_lo, s0
	s_wait_alu depctr_sa_sdst(0)
	s_cbranch_vccnz .LBB0_56
.LBB0_106:
	global_load_b32 v245, v[68:69], off offset:16
	s_and_b32 vcc_lo, exec_lo, s0
	s_wait_alu depctr_sa_sdst(0)
	s_cbranch_vccnz .LBB0_57
.LBB0_107:
	global_load_b32 v103, v[68:69], off offset:20
	v_dual_mov_b32 v105, 0 :: v_dual_mov_b32 v104, 0
	s_and_b32 vcc_lo, exec_lo, s0
	s_wait_alu depctr_sa_sdst(0)
	s_cbranch_vccnz .LBB0_58
.LBB0_108:
	global_load_b32 v104, v[68:69], off offset:24
	s_and_b32 vcc_lo, exec_lo, s0
	s_wait_alu depctr_sa_sdst(0)
	s_cbranch_vccnz .LBB0_59
.LBB0_109:
	global_load_b32 v105, v[68:69], off offset:28
	v_dual_mov_b32 v230, 0 :: v_dual_mov_b32 v229, 0
	s_and_b32 vcc_lo, exec_lo, s0
	s_wait_alu depctr_sa_sdst(0)
	s_cbranch_vccnz .LBB0_60
.LBB0_110:
	global_load_b32 v229, v[68:69], off offset:64
	s_and_b32 vcc_lo, exec_lo, s0
	s_wait_alu depctr_sa_sdst(0)
	s_cbranch_vccnz .LBB0_61
.LBB0_111:
	global_load_b32 v230, v[68:69], off offset:68
	v_dual_mov_b32 v232, 0 :: v_dual_mov_b32 v231, 0
	s_and_b32 vcc_lo, exec_lo, s0
	s_wait_alu depctr_sa_sdst(0)
	s_cbranch_vccnz .LBB0_62
.LBB0_112:
	global_load_b32 v231, v[68:69], off offset:72
	s_and_b32 vcc_lo, exec_lo, s0
	s_wait_alu depctr_sa_sdst(0)
	s_cbranch_vccnz .LBB0_63
.LBB0_113:
	global_load_b32 v232, v[68:69], off offset:76
	v_dual_mov_b32 v58, 0 :: v_dual_mov_b32 v57, 0
	s_and_b32 vcc_lo, exec_lo, s0
	s_wait_alu depctr_sa_sdst(0)
	s_cbranch_vccnz .LBB0_64
.LBB0_114:
	global_load_b32 v57, v[68:69], off offset:80
	s_and_b32 vcc_lo, exec_lo, s0
	s_wait_alu depctr_sa_sdst(0)
	s_cbranch_vccnz .LBB0_65
.LBB0_115:
	global_load_b32 v58, v[68:69], off offset:84
	v_dual_mov_b32 v60, 0 :: v_dual_mov_b32 v59, 0
	s_and_b32 vcc_lo, exec_lo, s0
	s_wait_alu depctr_sa_sdst(0)
	s_cbranch_vccnz .LBB0_66
.LBB0_116:
	global_load_b32 v59, v[68:69], off offset:88
	s_and_b32 vcc_lo, exec_lo, s0
	s_wait_alu depctr_sa_sdst(0)
	s_cbranch_vccnz .LBB0_67
.LBB0_117:
	global_load_b32 v60, v[68:69], off offset:92
	v_dual_mov_b32 v168, 0 :: v_dual_mov_b32 v13, 0
	.loc	1 64 21                         ; attention_bwd.py:64:21 @[ attention_bwd.py:200:26 ]
	s_and_b32 vcc_lo, exec_lo, s0
	s_wait_alu depctr_sa_sdst(0)
	s_cbranch_vccnz .LBB0_68
.LBB0_118:
	.loc	1 0 21 is_stmt 0                ; attention_bwd.py:0:21
	v_lshlrev_b64_e32 v[64:65], 2, v[64:65]
	s_delay_alu instid0(VALU_DEP_1) | instskip(SKIP_1) | instid1(VALU_DEP_2)
	v_add_co_u32 v64, vcc_lo, s6, v64
	s_wait_alu depctr_va_vcc(0)
	v_add_co_ci_u32_e64 v65, null, s7, v65, vcc_lo
	.loc	1 64 21                         ; attention_bwd.py:64:21 @[ attention_bwd.py:200:26 ]
	global_load_b32 v13, v[64:65], off
	.loc	1 64 25                         ; attention_bwd.py:64:25 @[ attention_bwd.py:200:26 ]
	v_add_co_u32 v64, vcc_lo, s6, v66
	s_wait_alu depctr_va_vcc(0)
	v_add_co_ci_u32_e64 v65, null, s7, v67, vcc_lo
	.loc	1 64 21                         ; attention_bwd.py:64:21 @[ attention_bwd.py:200:26 ]
	s_and_b32 vcc_lo, exec_lo, s0
	s_wait_alu depctr_sa_sdst(0)
	s_cbranch_vccnz .LBB0_69
.LBB0_119:
	global_load_b32 v168, v[64:65], off offset:4
	v_dual_mov_b32 v170, 0 :: v_dual_mov_b32 v169, 0
	s_and_b32 vcc_lo, exec_lo, s0
	s_wait_alu depctr_sa_sdst(0)
	s_cbranch_vccnz .LBB0_70
.LBB0_120:
	global_load_b32 v169, v[64:65], off offset:8
	s_and_b32 vcc_lo, exec_lo, s0
	s_wait_alu depctr_sa_sdst(0)
	s_cbranch_vccnz .LBB0_71
.LBB0_121:
	global_load_b32 v170, v[64:65], off offset:12
	v_dual_mov_b32 v66, 0 :: v_dual_mov_b32 v171, 0
	s_and_b32 vcc_lo, exec_lo, s0
	s_wait_alu depctr_sa_sdst(0)
	s_cbranch_vccnz .LBB0_72
.LBB0_122:
	global_load_b32 v171, v[64:65], off offset:16
	s_and_b32 vcc_lo, exec_lo, s0
	s_wait_alu depctr_sa_sdst(0)
	s_cbranch_vccnz .LBB0_73
.LBB0_123:
	global_load_b32 v66, v[64:65], off offset:20
	v_dual_mov_b32 v68, 0 :: v_dual_mov_b32 v67, 0
	s_and_b32 vcc_lo, exec_lo, s0
	s_wait_alu depctr_sa_sdst(0)
	s_cbranch_vccz .LBB0_74
	s_branch .LBB0_75
.LBB0_124:
	global_load_b32 v68, v[64:65], off offset:28
	v_dual_mov_b32 v222, 0 :: v_dual_mov_b32 v221, 0
	s_and_b32 vcc_lo, exec_lo, s0
	s_wait_alu depctr_sa_sdst(0)
	s_cbranch_vccnz .LBB0_77
.LBB0_125:
	global_load_b32 v221, v[64:65], off offset:64
	s_and_b32 vcc_lo, exec_lo, s0
	s_wait_alu depctr_sa_sdst(0)
	s_cbranch_vccnz .LBB0_78
.LBB0_126:
	global_load_b32 v222, v[64:65], off offset:68
	v_dual_mov_b32 v224, 0 :: v_dual_mov_b32 v223, 0
	s_and_b32 vcc_lo, exec_lo, s0
	s_wait_alu depctr_sa_sdst(0)
	s_cbranch_vccnz .LBB0_79
.LBB0_127:
	global_load_b32 v223, v[64:65], off offset:72
	s_and_b32 vcc_lo, exec_lo, s0
	s_wait_alu depctr_sa_sdst(0)
	s_cbranch_vccnz .LBB0_80
.LBB0_128:
	global_load_b32 v224, v[64:65], off offset:76
	v_dual_mov_b32 v162, 0 :: v_dual_mov_b32 v161, 0
	s_and_b32 vcc_lo, exec_lo, s0
	s_wait_alu depctr_sa_sdst(0)
	s_cbranch_vccnz .LBB0_81
.LBB0_129:
	global_load_b32 v161, v[64:65], off offset:80
	s_and_b32 vcc_lo, exec_lo, s0
	s_wait_alu depctr_sa_sdst(0)
	s_cbranch_vccnz .LBB0_82
.LBB0_130:
	global_load_b32 v162, v[64:65], off offset:84
	v_dual_mov_b32 v164, 0 :: v_dual_mov_b32 v163, 0
	s_and_b32 vcc_lo, exec_lo, s0
	s_wait_alu depctr_sa_sdst(0)
	s_cbranch_vccnz .LBB0_83
.LBB0_131:
	global_load_b32 v163, v[64:65], off offset:88
	s_and_b32 vcc_lo, exec_lo, s0
	s_wait_alu depctr_sa_sdst(0)
	s_cbranch_vccz .LBB0_84
	s_branch .LBB0_85
.LBB0_132:
	.loc	1 0 21                          ; attention_bwd.py:0:21
	s_mov_b32 s2, -1
                                        ; implicit-def: $vgpr64
.LBB0_133:                              ; %Flow2108
	v_writelane_b32 v253, s84, 8
	s_wait_alu depctr_sa_sdst(0)
	s_and_not1_b32 vcc_lo, exec_lo, s2
	s_lshl_b32 s2, s22, 5
	s_clause 0x7                            ; 76-byte Folded Spill
	scratch_store_b128 off, v[9:12], off offset:908
	scratch_store_b64 off, v[0:1], off offset:1248
	scratch_store_b128 off, v[135:138], off offset:940
	scratch_store_b32 off, v184, off offset:956
	scratch_store_b64 off, v[211:212], off offset:976
	scratch_store_b32 off, v237, off offset:960
	scratch_store_b32 off, v15, off offset:964
	scratch_store_b128 off, v[189:192], off offset:876
	v_writelane_b32 v253, s85, 9
	v_writelane_b32 v253, s86, 10
	;; [unrolled: 1-line block ×7, first 2 shown]
	s_wait_alu depctr_sa_sdst(0)
	s_cbranch_vccnz .LBB0_137
; %bb.134:                              ; %.lr.ph
	.loc	1 47 25 is_stmt 1               ; attention_bwd.py:47:25 @[ attention_bwd.py:200:26 ]
	v_add3_u32 v64, s34, v184, 64
	v_dual_mov_b32 v186, v68 :: v_dual_mov_b32 v185, v67
	v_dual_mov_b32 v228, v39 :: v_dual_mov_b32 v225, v36
	;; [unrolled: 1-line block ×7, first 2 shown]
	v_mov_b32_e32 v230, v41
	s_clause 0x6                            ; 112-byte Folded Reload
	scratch_load_b128 v[49:52], off, off offset:208
	scratch_load_b128 v[53:56], off, off offset:224
	scratch_load_b128 v[32:35], off, off offset:144
	scratch_load_b128 v[36:39], off, off offset:160
	scratch_load_b128 v[41:44], off, off offset:176
	scratch_load_b128 v[45:48], off, off offset:192
	scratch_load_b128 v[246:249], off, off offset:924
	v_mul_lo_u32 v64, s22, v64
	s_ashr_i32 s3, s2, 31
	s_mov_b32 s100, s2
	s_wait_alu depctr_sa_sdst(0)
	s_lshl_b64 s[2:3], s[2:3], 1
	s_lshl_b64 s[68:69], s[66:67], 1
	s_wait_alu depctr_sa_sdst(0)
	s_add_nc_u64 s[4:5], s[24:25], s[2:3]
	s_lshl_b64 s[70:71], s[64:65], 1
	s_wait_alu depctr_sa_sdst(0)
	s_add_nc_u64 s[24:25], s[4:5], s[68:69]
	v_ashrrev_i32_e32 v65, 31, v64
	s_lshl_b64 s[72:73], s[60:61], 1
	s_add_nc_u64 s[68:69], s[4:5], s[70:71]
	s_clause 0x1                            ; 8-byte Folded Spill
	scratch_store_b32 off, v14, off offset:1264
	scratch_store_b32 off, v193, off offset:1260
	s_lshl_b64 s[74:75], s[58:59], 1
	v_lshlrev_b64_e32 v[64:65], 1, v[64:65]
	s_wait_alu depctr_sa_sdst(0)
	s_add_nc_u64 s[70:71], s[4:5], s[72:73]
	s_add_nc_u64 s[72:73], s[4:5], s[74:75]
	v_writelane_b32 v253, s82, 6
.Ltmp141:
	.loc	1 191 37                        ; attention_bwd.py:191:37
	s_ashr_i32 s31, s1, 31
	scratch_store_b32 off, v73, off offset:1268 ; 4-byte Folded Spill
.Ltmp142:
	.loc	1 47 25                         ; attention_bwd.py:47:25 @[ attention_bwd.py:200:26 ]
	v_add_co_u32 v0, vcc_lo, s24, v64
	s_wait_alu depctr_va_vcc(0)
	v_add_co_ci_u32_e64 v14, null, s25, v65, vcc_lo
	v_add_co_u32 v15, vcc_lo, s68, v64
	s_wait_alu depctr_va_vcc(0)
	v_add_co_ci_u32_e64 v74, null, s69, v65, vcc_lo
	v_add_co_u32 v75, vcc_lo, s70, v64
	s_lshl_b64 s[24:25], s[56:57], 1
	s_wait_alu depctr_va_vcc(0)
	v_add_co_ci_u32_e64 v76, null, s71, v65, vcc_lo
	s_wait_alu depctr_sa_sdst(0)
	v_add_co_u32 v77, vcc_lo, s72, v64
	s_add_nc_u64 s[24:25], s[4:5], s[24:25]
	s_wait_alu depctr_va_vcc(0)
	v_add_co_ci_u32_e64 v78, null, s73, v65, vcc_lo
	s_lshl_b64 s[68:69], s[54:55], 1
	s_wait_alu depctr_sa_sdst(0)
	v_add_co_u32 v79, vcc_lo, s24, v64
	s_wait_alu depctr_va_vcc(0)
	v_add_co_ci_u32_e64 v83, null, s25, v65, vcc_lo
	s_add_nc_u64 s[24:25], s[4:5], s[68:69]
	s_lshl_b64 s[68:69], s[52:53], 1
	s_wait_alu depctr_sa_sdst(0)
	v_add_co_u32 v84, vcc_lo, s24, v64
	s_wait_alu depctr_va_vcc(0)
	v_add_co_ci_u32_e64 v85, null, s25, v65, vcc_lo
	s_add_nc_u64 s[24:25], s[4:5], s[68:69]
	;; [unrolled: 6-line block ×9, first 2 shown]
	s_lshl_b64 s[68:69], s[12:13], 1
	s_wait_alu depctr_sa_sdst(0)
	v_add_co_u32 v72, vcc_lo, s24, v64
	s_wait_alu depctr_va_vcc(0)
	v_add_co_ci_u32_e64 v98, null, s25, v65, vcc_lo
	s_lshl_b64 s[24:25], s[10:11], 1
	s_add_nc_u64 s[68:69], s[4:5], s[68:69]
	s_wait_alu depctr_sa_sdst(0)
	s_add_nc_u64 s[4:5], s[4:5], s[24:25]
	v_add_co_u32 v99, vcc_lo, s68, v64
	s_add_co_i32 s24, s104, 0x5e
	s_wait_alu depctr_va_vcc(0)
	v_add_co_ci_u32_e64 v100, null, s69, v65, vcc_lo
	s_wait_alu depctr_sa_sdst(0)
	v_add_co_u32 v101, vcc_lo, s4, v64
	s_mul_i32 s4, s22, s24
	s_wait_alu depctr_va_vcc(0)
	v_add_co_ci_u32_e64 v63, null, s5, v65, vcc_lo
	s_wait_alu depctr_sa_sdst(0)
	s_ashr_i32 s5, s4, 31
	s_add_nc_u64 s[68:69], s[84:85], s[2:3]
	s_wait_alu depctr_sa_sdst(0)
	s_lshl_b64 s[4:5], s[4:5], 1
	v_writelane_b32 v253, s83, 7
	s_wait_alu depctr_sa_sdst(0)
	s_add_nc_u64 s[70:71], s[68:69], s[4:5]
	s_add_co_i32 s4, s104, 0x5a
	s_add_co_i32 s5, s104, 0x58
	s_wait_alu depctr_sa_sdst(0)
	s_mul_i32 s4, s22, s4
	s_mul_i32 s72, s22, s5
	s_wait_alu depctr_sa_sdst(0)
	s_ashr_i32 s5, s4, 31
	s_add_co_i32 s24, s104, 0x5c
	s_wait_alu depctr_sa_sdst(0)
	s_lshl_b64 s[4:5], s[4:5], 1
	s_mul_i32 s24, s22, s24
	s_wait_alu depctr_sa_sdst(0)
	s_add_nc_u64 s[74:75], s[68:69], s[4:5]
	s_add_co_i32 s4, s104, 0x56
	s_add_co_i32 s5, s104, 0x54
	s_wait_alu depctr_sa_sdst(0)
	s_mul_i32 s4, s22, s4
	s_mul_i32 s76, s22, s5
	s_wait_alu depctr_sa_sdst(0)
	s_ashr_i32 s5, s4, 31
	s_ashr_i32 s25, s24, 31
	s_wait_alu depctr_sa_sdst(0)
	s_lshl_b64 s[4:5], s[4:5], 1
	s_ashr_i32 s73, s72, 31
	s_wait_alu depctr_sa_sdst(0)
	s_add_nc_u64 s[78:79], s[68:69], s[4:5]
	s_add_co_i32 s4, s104, 0x52
	s_add_co_i32 s5, s104, 0x50
	s_wait_alu depctr_sa_sdst(0)
	s_mul_i32 s4, s22, s4
	s_mul_i32 s80, s22, s5
	s_wait_alu depctr_sa_sdst(0)
	s_ashr_i32 s5, s4, 31
	s_ashr_i32 s77, s76, 31
	s_wait_alu depctr_sa_sdst(0)
	s_lshl_b64 s[4:5], s[4:5], 1
	s_ashr_i32 s81, s80, 31
	s_wait_alu depctr_sa_sdst(0)
	s_add_nc_u64 s[82:83], s[68:69], s[4:5]
	s_add_co_i32 s4, s104, 0x4e
	s_add_co_i32 s5, s104, 0x4c
	s_wait_alu depctr_sa_sdst(0)
	s_mul_i32 s4, s22, s4
	s_mul_i32 vcc_lo, s22, s5
	s_wait_alu depctr_sa_sdst(0)
	s_ashr_i32 s5, s4, 31
	s_ashr_i32 vcc_hi, vcc_lo, 31
	s_wait_alu depctr_sa_sdst(0)
	s_lshl_b64 s[4:5], s[4:5], 1
	s_lshl_b64 vcc, vcc, 1
	s_wait_alu depctr_sa_sdst(0)
	s_add_nc_u64 s[84:85], s[68:69], s[4:5]
	s_add_co_i32 s4, s104, 0x4a
	s_add_co_i32 s5, s104, 0x48
	s_wait_alu depctr_sa_sdst(0)
	s_mul_i32 s4, s22, s4
	s_add_nc_u64 s[86:87], s[68:69], vcc
	s_mul_i32 vcc_lo, s22, s5
	s_wait_alu depctr_sa_sdst(0)
	s_ashr_i32 s5, s4, 31
	s_ashr_i32 vcc_hi, vcc_lo, 31
	s_wait_alu depctr_sa_sdst(0)
	s_lshl_b64 s[4:5], s[4:5], 1
	s_lshl_b64 vcc, vcc, 1
	s_wait_alu depctr_sa_sdst(0)
	s_add_nc_u64 s[88:89], s[68:69], s[4:5]
	s_add_co_i32 s4, s104, 0x46
	s_add_co_i32 s5, s104, 0x44
	s_wait_alu depctr_sa_sdst(0)
	s_mul_i32 s4, s22, s4
	s_add_nc_u64 s[90:91], s[68:69], vcc
	s_mul_i32 vcc_lo, s22, s5
	s_wait_alu depctr_sa_sdst(0)
	s_ashr_i32 s5, s4, 31
	s_ashr_i32 vcc_hi, vcc_lo, 31
	s_wait_alu depctr_sa_sdst(0)
	s_lshl_b64 s[4:5], s[4:5], 1
	s_lshl_b64 vcc, vcc, 1
	s_wait_alu depctr_sa_sdst(0)
	s_add_nc_u64 s[92:93], s[68:69], s[4:5]
	s_add_co_i32 s4, s104, 0x42
	s_add_co_i32 s104, s104, 64
	s_add_nc_u64 s[94:95], s[68:69], vcc
	s_wait_alu depctr_sa_sdst(0)
	s_mul_i32 s4, s22, s4
	s_mul_i32 vcc_lo, s22, s104
	s_wait_alu depctr_sa_sdst(0)
	s_ashr_i32 s5, s4, 31
	s_ashr_i32 vcc_hi, vcc_lo, 31
	s_lshl_b64 s[24:25], s[24:25], 1
	s_lshl_b64 s[72:73], s[72:73], 1
	;; [unrolled: 1-line block ×4, first 2 shown]
	s_wait_alu depctr_sa_sdst(0)
	s_lshl_b64 s[4:5], s[4:5], 1
	s_lshl_b64 vcc, vcc, 1
	s_add_nc_u64 s[24:25], s[68:69], s[24:25]
	s_add_nc_u64 s[72:73], s[68:69], s[72:73]
	;; [unrolled: 1-line block ×4, first 2 shown]
	s_wait_alu depctr_sa_sdst(0)
	s_add_nc_u64 s[96:97], s[68:69], s[4:5]
	s_add_nc_u64 s[68:69], s[68:69], vcc
	v_add_co_u32 v166, vcc_lo, s70, v211
	s_wait_alu depctr_va_vcc(0)
	v_add_co_ci_u32_e64 v80, null, s71, v212, vcc_lo
	v_add_co_u32 v167, vcc_lo, s24, v211
	s_wait_alu depctr_va_vcc(0)
	v_add_co_ci_u32_e64 v81, null, s25, v212, vcc_lo
	;; [unrolled: 3-line block ×12, first 2 shown]
	v_add_co_u32 v125, vcc_lo, s92, v211
	v_add3_u32 v65, s35, s33, v73
	s_wait_alu depctr_va_vcc(0)
	v_add_co_ci_u32_e64 v126, null, s93, v212, vcc_lo
	v_add_co_u32 v127, vcc_lo, s94, v211
.Ltmp143:
	.loc	1 191 37                        ; attention_bwd.py:191:37
	s_lshr_b32 s4, s31, 27
	v_lshlrev_b32_e32 v64, 5, v188
.Ltmp144:
	.loc	1 47 25                         ; attention_bwd.py:47:25 @[ attention_bwd.py:200:26 ]
	s_wait_alu depctr_va_vcc(0)
	v_add_co_ci_u32_e64 v128, null, s95, v212, vcc_lo
	s_wait_alu depctr_sa_sdst(0)
	v_add_co_u32 v129, vcc_lo, s96, v211
.Ltmp145:
	.loc	1 191 37                        ; attention_bwd.py:191:37
	s_add_co_i32 s1, s1, s4
.Ltmp146:
	.loc	1 47 25                         ; attention_bwd.py:47:25 @[ attention_bwd.py:200:26 ]
	s_wait_alu depctr_va_vcc(0)
	v_add_co_ci_u32_e64 v130, null, s97, v212, vcc_lo
	v_add_co_u32 v61, vcc_lo, s68, v211
.Ltmp147:
	.loc	1 191 37                        ; attention_bwd.py:191:37
	s_wait_alu depctr_sa_sdst(0)
	s_ashr_i32 s1, s1, 5
	v_dual_mov_b32 v240, v179 :: v_dual_add_nc_u32 v241, v65, v188
.Ltmp148:
	.loc	1 47 25                         ; attention_bwd.py:47:25 @[ attention_bwd.py:200:26 ]
	s_wait_alu depctr_va_vcc(0)
	v_add_co_ci_u32_e64 v62, null, s69, v212, vcc_lo
	v_mov_b32_e32 v239, v178
	v_add3_u32 v96, 0, v96, v64
	v_dual_mov_b32 v238, v177 :: v_dual_mov_b32 v237, v176
	s_wait_alu depctr_sa_sdst(0)
	s_max_i32 s1, s1, 2
	s_add_co_i32 s4, s34, 0x60
	s_wait_alu depctr_sa_sdst(0)
	s_add_co_i32 s1, s1, -1
.LBB0_135:                              ; =>This Inner Loop Header: Depth=1
	.loc	1 72 19                         ; attention_bwd.py:72:19 @[ attention_bwd.py:200:26 ]
	v_add_co_u32 v64, vcc_lo, v101, s20
	s_wait_alu depctr_va_vcc(0)
	v_add_co_ci_u32_e64 v65, null, s21, v63, vcc_lo
	s_clause 0x1d                           ; 144-byte Folded Spill
	scratch_store_b32 off, v63, off offset:560
	scratch_store_b32 off, v100, off offset:552
	;; [unrolled: 1-line block ×28, first 2 shown]
	scratch_store_b128 off, v[149:152], off offset:112
	scratch_store_b128 off, v[153:156], off offset:128
	.loc	1 51 24                         ; attention_bwd.py:51:24 @[ attention_bwd.py:200:26 ]
	s_ashr_i32 s5, s4, 31
	v_mov_b32_e32 v143, v82
	.loc	1 48 21                         ; attention_bwd.py:48:21 @[ attention_bwd.py:200:26 ]
	global_load_u16 v16, v[64:65], off
	.loc	1 72 19                         ; attention_bwd.py:72:19 @[ attention_bwd.py:200:26 ]
	v_add_co_u32 v64, vcc_lo, v99, s20
	s_wait_alu depctr_va_vcc(0)
	v_add_co_ci_u32_e64 v65, null, s21, v100, vcc_lo
	.loc	1 47 25                         ; attention_bwd.py:47:25 @[ attention_bwd.py:200:26 ]
	s_wait_alu depctr_sa_sdst(0)
	s_add_co_i32 s1, s1, -1
	v_mov_b32_e32 v212, v111
	v_mov_b32_e32 v210, v109
	.loc	1 72 19                         ; attention_bwd.py:72:19 @[ attention_bwd.py:200:26 ]
	s_wait_loadcnt 0x0
	scratch_store_b32 off, v16, off offset:568 ; 4-byte Folded Spill
	.loc	1 48 21                         ; attention_bwd.py:48:21 @[ attention_bwd.py:200:26 ]
	global_load_u16 v16, v[64:65], off
	.loc	1 72 19                         ; attention_bwd.py:72:19 @[ attention_bwd.py:200:26 ]
	v_add_co_u32 v64, vcc_lo, v72, s20
	s_wait_alu depctr_va_vcc(0)
	v_add_co_ci_u32_e64 v65, null, s21, v98, vcc_lo
	s_wait_loadcnt 0x0
	scratch_store_b32 off, v16, off offset:576 ; 4-byte Folded Spill
	.loc	1 48 21                         ; attention_bwd.py:48:21 @[ attention_bwd.py:200:26 ]
	global_load_u16 v16, v[64:65], off
	.loc	1 72 19                         ; attention_bwd.py:72:19 @[ attention_bwd.py:200:26 ]
	v_add_co_u32 v64, vcc_lo, v70, s20
	s_wait_alu depctr_va_vcc(0)
	v_add_co_ci_u32_e64 v65, null, s21, v71, vcc_lo
	;; [unrolled: 8-line block ×4, first 2 shown]
	v_mov_b32_e32 v95, v103
	s_wait_loadcnt 0x0
	scratch_store_b32 off, v16, off offset:600 ; 4-byte Folded Spill
	.loc	1 48 21                         ; attention_bwd.py:48:21 @[ attention_bwd.py:200:26 ]
	global_load_u16 v16, v[64:65], off
	.loc	1 72 19                         ; attention_bwd.py:72:19 @[ attention_bwd.py:200:26 ]
	v_add_co_u32 v64, vcc_lo, v92, s20
	s_wait_alu depctr_va_vcc(0)
	v_add_co_ci_u32_e64 v65, null, s21, v93, vcc_lo
	s_wait_loadcnt 0x0
	scratch_store_b32 off, v16, off offset:608 ; 4-byte Folded Spill
	.loc	1 48 21                         ; attention_bwd.py:48:21 @[ attention_bwd.py:200:26 ]
	global_load_u16 v16, v[64:65], off
	.loc	1 72 19                         ; attention_bwd.py:72:19 @[ attention_bwd.py:200:26 ]
	v_add_co_u32 v64, vcc_lo, v90, s20
	s_wait_alu depctr_va_vcc(0)
	v_add_co_ci_u32_e64 v65, null, s21, v91, vcc_lo
	s_wait_loadcnt 0x0
	scratch_store_b32 off, v16, off offset:616 ; 4-byte Folded Spill
	.loc	1 48 21                         ; attention_bwd.py:48:21 @[ attention_bwd.py:200:26 ]
	global_load_u16 v16, v[64:65], off
	.loc	1 72 19                         ; attention_bwd.py:72:19 @[ attention_bwd.py:200:26 ]
	v_add_co_u32 v64, vcc_lo, v88, s20
	s_wait_alu depctr_va_vcc(0)
	v_add_co_ci_u32_e64 v65, null, s21, v89, vcc_lo
	s_wait_loadcnt 0x0
	scratch_store_b32 off, v16, off offset:624 ; 4-byte Folded Spill
	.loc	1 48 21                         ; attention_bwd.py:48:21 @[ attention_bwd.py:200:26 ]
	global_load_u16 v16, v[64:65], off
	.loc	1 72 19                         ; attention_bwd.py:72:19 @[ attention_bwd.py:200:26 ]
	v_add_co_u32 v64, vcc_lo, v86, s20
	s_wait_alu depctr_va_vcc(0)
	v_add_co_ci_u32_e64 v65, null, s21, v87, vcc_lo
	s_wait_loadcnt 0x0
	scratch_store_b32 off, v16, off offset:632 ; 4-byte Folded Spill
	.loc	1 48 21                         ; attention_bwd.py:48:21 @[ attention_bwd.py:200:26 ]
	global_load_u16 v16, v[64:65], off
	.loc	1 72 19                         ; attention_bwd.py:72:19 @[ attention_bwd.py:200:26 ]
	v_add_co_u32 v64, vcc_lo, v84, s20
	s_wait_alu depctr_va_vcc(0)
	v_add_co_ci_u32_e64 v65, null, s21, v85, vcc_lo
	s_wait_loadcnt 0x0
	scratch_store_b32 off, v16, off offset:640 ; 4-byte Folded Spill
	.loc	1 48 21                         ; attention_bwd.py:48:21 @[ attention_bwd.py:200:26 ]
	global_load_u16 v16, v[64:65], off
	.loc	1 72 19                         ; attention_bwd.py:72:19 @[ attention_bwd.py:200:26 ]
	v_add_co_u32 v64, vcc_lo, v79, s20
	s_wait_alu depctr_va_vcc(0)
	v_add_co_ci_u32_e64 v65, null, s21, v83, vcc_lo
	s_wait_loadcnt 0x0
	scratch_store_b32 off, v16, off offset:648 ; 4-byte Folded Spill
	.loc	1 48 21                         ; attention_bwd.py:48:21 @[ attention_bwd.py:200:26 ]
	global_load_u16 v16, v[64:65], off
	.loc	1 72 19                         ; attention_bwd.py:72:19 @[ attention_bwd.py:200:26 ]
	v_add_co_u32 v64, vcc_lo, v77, s20
	s_wait_alu depctr_va_vcc(0)
	v_add_co_ci_u32_e64 v65, null, s21, v78, vcc_lo
	s_wait_loadcnt 0x0
	scratch_store_b32 off, v16, off offset:656 ; 4-byte Folded Spill
	.loc	1 48 21                         ; attention_bwd.py:48:21 @[ attention_bwd.py:200:26 ]
	global_load_u16 v16, v[64:65], off
	.loc	1 72 19                         ; attention_bwd.py:72:19 @[ attention_bwd.py:200:26 ]
	v_add_co_u32 v64, vcc_lo, v75, s20
	s_wait_alu depctr_va_vcc(0)
	v_add_co_ci_u32_e64 v65, null, s21, v76, vcc_lo
	s_wait_loadcnt 0x0
	scratch_store_b32 off, v16, off offset:664 ; 4-byte Folded Spill
	.loc	1 48 21                         ; attention_bwd.py:48:21 @[ attention_bwd.py:200:26 ]
	global_load_u16 v16, v[64:65], off
	.loc	1 72 19                         ; attention_bwd.py:72:19 @[ attention_bwd.py:200:26 ]
	v_add_co_u32 v64, vcc_lo, v15, s20
	s_wait_alu depctr_va_vcc(0)
	v_add_co_ci_u32_e64 v65, null, s21, v74, vcc_lo
	s_wait_loadcnt 0x0
	scratch_store_b32 off, v16, off offset:672 ; 4-byte Folded Spill
	.loc	1 48 21                         ; attention_bwd.py:48:21 @[ attention_bwd.py:200:26 ]
	global_load_u16 v16, v[64:65], off
	.loc	1 73 19                         ; attention_bwd.py:73:19 @[ attention_bwd.py:200:26 ]
	v_add_co_u32 v64, vcc_lo, v0, s20
	s_wait_alu depctr_va_vcc(0)
	v_add_co_ci_u32_e64 v65, null, s21, v14, vcc_lo
	s_wait_loadcnt 0x0
	scratch_store_b32 off, v16, off offset:680 ; 4-byte Folded Spill
	.loc	1 48 21                         ; attention_bwd.py:48:21 @[ attention_bwd.py:200:26 ]
	global_load_u16 v16, v[64:65], off
	.loc	1 69 26                         ; attention_bwd.py:69:26 @[ attention_bwd.py:200:26 ]
	s_wait_loadcnt 0x0
	scratch_store_b32 off, v16, off offset:688 ; 4-byte Folded Spill
	s_wait_storecnt_dscnt 0x0
	s_barrier_signal -1
	s_barrier_wait -1
	global_inv scope:SCOPE_SE
	.loc	1 48 21                         ; attention_bwd.py:48:21 @[ attention_bwd.py:200:26 ]
	ds_load_u16 v73, v96 offset:128
	ds_load_u16 v72, v96
	ds_load_u16 v74, v96 offset:256
	ds_load_u16 v75, v96 offset:384
	;; [unrolled: 1-line block ×13, first 2 shown]
	s_wait_dscnt 0x1
	ds_load_u16_d16_hi v77, v96 offset:1216
	s_wait_dscnt 0x1
	ds_load_u16_d16_hi v147, v96 offset:1120
	ds_load_u16 v154, v96 offset:416
	ds_load_u16 v151, v96 offset:32
	ds_load_u16_d16_hi v73, v96 offset:192
	ds_load_u16_d16_hi v72, v96 offset:64
	ds_load_u16 v153, v96 offset:288
	ds_load_u16 v152, v96 offset:160
	ds_load_u16_d16_hi v74, v96 offset:320
	ds_load_u16_d16_hi v75, v96 offset:448
	;; [unrolled: 1-line block ×3, first 2 shown]
	ds_load_u16 v148, v96 offset:1184
	ds_load_u16_d16_hi v93, v96 offset:2400
	ds_load_u16_d16_hi v78, v96 offset:1344
	;; [unrolled: 1-line block ×3, first 2 shown]
	ds_load_u16 v91, v96 offset:2080
	ds_load_u16 v150, v96 offset:1440
	;; [unrolled: 1-line block ×4, first 2 shown]
	ds_load_u16_d16_hi v83, v96 offset:2112
	ds_load_u16_d16_hi v84, v96 offset:2240
	;; [unrolled: 1-line block ×3, first 2 shown]
	s_wait_dscnt 0x3
	ds_load_u16_d16_hi v86, v96 offset:2496
	ds_load_u16 v94, v96 offset:2464
	ds_load_u16_d16_hi v92, v96 offset:2272
	ds_load_u16_d16_hi v148, v96 offset:1248
	ds_load_u16_d16_hi v149, v96 offset:1376
	ds_load_u16_d16_hi v91, v96 offset:2144
	ds_load_u16_d16_hi v150, v96 offset:1504
	.loc	1 52 24                         ; attention_bwd.py:52:24 @[ attention_bwd.py:200:26 ]
	v_wmma_f32_16x16x16_f16 v[64:71], v[72:75], v[196:199], 0
	.loc	1 48 21                         ; attention_bwd.py:48:21 @[ attention_bwd.py:200:26 ]
	ds_load_u16_d16_hi v154, v96 offset:480
	ds_load_u16_d16_hi v151, v96 offset:96
	;; [unrolled: 1-line block ×4, first 2 shown]
	.loc	1 52 24                         ; attention_bwd.py:52:24 @[ attention_bwd.py:200:26 ]
	v_wmma_f32_16x16x16_f16 v[64:71], v[76:79], v[135:138], v[64:71]
	.loc	1 48 21                         ; attention_bwd.py:48:21 @[ attention_bwd.py:200:26 ]
	ds_load_u16 v88, v96 offset:3200
	ds_load_u16 v89, v96 offset:3328
	;; [unrolled: 1-line block ×6, first 2 shown]
	.loc	1 52 24                         ; attention_bwd.py:52:24 @[ attention_bwd.py:200:26 ]
	s_wait_dscnt 0x10
	v_wmma_f32_16x16x16_f16 v[64:71], v[83:86], v[112:115], v[64:71]
	.loc	1 48 21                         ; attention_bwd.py:48:21 @[ attention_bwd.py:200:26 ]
	s_wait_dscnt 0x0
	ds_load_u16_d16_hi v76, v96 offset:4192
	ds_load_u16_d16_hi v87, v96 offset:3136
	;; [unrolled: 1-line block ×3, first 2 shown]
	ds_load_u16 v86, v96 offset:3488
	ds_load_u16 v85, v96 offset:3360
	;; [unrolled: 1-line block ×3, first 2 shown]
	ds_load_u16_d16_hi v89, v96 offset:3392
	ds_load_u16_d16_hi v90, v96 offset:3520
	ds_load_u16 v77, v96 offset:4256
	s_wait_dscnt 0x5
	ds_load_u16_d16_hi v86, v96 offset:3552
	ds_load_u16 v83, v96 offset:3104
	s_wait_dscnt 0x6
	ds_load_u16_d16_hi v85, v96 offset:3424
	ds_load_u16_d16_hi v94, v96 offset:2528
	s_wait_dscnt 0x2
	ds_load_u16_d16_hi v83, v96 offset:3168
	ds_load_u16_d16_hi v84, v96 offset:3296
	.loc	1 52 24                         ; attention_bwd.py:52:24 @[ attention_bwd.py:200:26 ]
	v_wmma_f32_16x16x16_f16 v[64:71], v[87:90], v[108:111], v[64:71]
	.loc	1 48 21                         ; attention_bwd.py:48:21 @[ attention_bwd.py:200:26 ]
	ds_load_u16 v73, v96 offset:4224
	ds_load_u16 v75, v96 offset:4480
	;; [unrolled: 1-line block ×8, first 2 shown]
	ds_load_u16_d16_hi v72, v96 offset:4160
	s_wait_dscnt 0x8
	ds_load_u16_d16_hi v73, v96 offset:4288
	s_wait_dscnt 0x3
	ds_load_u16_d16_hi v174, v96 offset:5472
	ds_load_u16_d16_hi v74, v96 offset:4416
	;; [unrolled: 1-line block ×3, first 2 shown]
	ds_load_u16 v172, v96 offset:5152
	ds_load_u16 v79, v96 offset:4512
	;; [unrolled: 1-line block ×4, first 2 shown]
	ds_load_u16_d16_hi v87, v96 offset:5184
	ds_load_u16_d16_hi v88, v96 offset:5312
	;; [unrolled: 1-line block ×3, first 2 shown]
	s_wait_dscnt 0x3
	ds_load_u16_d16_hi v90, v96 offset:5568
	ds_load_u16 v175, v96 offset:5536
	ds_load_u16_d16_hi v173, v96 offset:5344
	ds_load_u16_d16_hi v77, v96 offset:4320
	;; [unrolled: 1-line block ×5, first 2 shown]
	.loc	1 52 24                         ; attention_bwd.py:52:24 @[ attention_bwd.py:200:26 ]
	v_wmma_f32_16x16x16_f16 v[64:71], v[72:75], v[217:220], v[64:71]
	s_wait_dscnt 0x6
	s_delay_alu instid0(VALU_DEP_1)
	v_wmma_f32_16x16x16_f16 v[64:71], v[87:90], v[157:160], v[64:71]
	.loc	1 48 21                         ; attention_bwd.py:48:21 @[ attention_bwd.py:200:26 ]
	ds_load_u16 v98, v96 offset:6272
	ds_load_u16 v99, v96 offset:6400
	;; [unrolled: 1-line block ×8, first 2 shown]
	s_wait_dscnt 0x4
	ds_load_u16_d16_hi v72, v96 offset:7232
	s_wait_dscnt 0x3
	ds_load_u16_d16_hi v87, v96 offset:7264
	ds_load_u16_d16_hi v97, v96 offset:6208
	;; [unrolled: 1-line block ×3, first 2 shown]
	ds_load_u16 v179, v96 offset:6560
	ds_load_u16 v178, v96 offset:6432
	;; [unrolled: 1-line block ×3, first 2 shown]
	ds_load_u16_d16_hi v99, v96 offset:6464
	ds_load_u16_d16_hi v100, v96 offset:6592
	ds_load_u16 v88, v96 offset:7328
	s_wait_dscnt 0xb
	ds_load_u16_d16_hi v73, v96 offset:7360
	ds_load_u16_d16_hi v74, v96 offset:7488
	s_wait_dscnt 0xc
	ds_load_u16_d16_hi v75, v96 offset:7616
	ds_load_u16 v89, v96 offset:7456
	ds_load_u16 v90, v96 offset:7584
	s_wait_dscnt 0xa
	ds_load_u16_d16_hi v179, v96 offset:6624
	ds_load_u16 v176, v96 offset:6176
	s_wait_dscnt 0xb
	ds_load_u16_d16_hi v178, v96 offset:6496
	.loc	1 52 24                         ; attention_bwd.py:52:24 @[ attention_bwd.py:200:26 ]
	s_wait_dscnt 0x9
	v_wmma_f32_16x16x16_f16 v[64:71], v[97:100], v[139:142], v[64:71]
	v_dual_mov_b32 v98, v105 :: v_dual_mov_b32 v99, v165
	.loc	1 48 21                         ; attention_bwd.py:48:21 @[ attention_bwd.py:200:26 ]
	ds_load_u16_d16_hi v175, v96 offset:5600
	s_wait_dscnt 0x2
	ds_load_u16_d16_hi v176, v96 offset:6240
	ds_load_u16_d16_hi v177, v96 offset:6368
	.loc	1 52 24                         ; attention_bwd.py:52:24 @[ attention_bwd.py:200:26 ]
	v_wmma_f32_16x16x16_f16 v[64:71], v[72:75], v[131:134], v[64:71]
	v_dual_mov_b32 v72, v242 :: v_dual_mov_b32 v73, v243
	v_dual_mov_b32 v74, v244 :: v_dual_mov_b32 v75, v245
	s_delay_alu instid0(VALU_DEP_2) | instskip(NEXT) | instid1(VALU_DEP_4)
	v_dual_mov_b32 v97, v104 :: v_dual_sub_f32 v146, v65, v72
	.loc	1 53 32                         ; attention_bwd.py:53:32 @[ attention_bwd.py:200:26 ]
	v_sub_f32_e32 v145, v64, v99
	s_delay_alu instid0(VALU_DEP_3)
	v_dual_mov_b32 v211, v110 :: v_dual_sub_f32 v106, v67, v74
	v_dual_mov_b32 v209, v108 :: v_dual_sub_f32 v108, v66, v73
	v_sub_f32_e32 v104, v68, v75
	v_sub_f32_e32 v102, v69, v95
	v_mov_b32_e32 v95, v101
	v_sub_f32_e32 v101, v70, v97
	v_dual_sub_f32 v63, v71, v98 :: v_dual_mov_b32 v72, v225
	.loc	1 52 24                         ; attention_bwd.py:52:24 @[ attention_bwd.py:200:26 ]
	v_wmma_f32_16x16x16_f16 v[64:71], v[151:154], v[196:199], 0
	.loc	1 48 21                         ; attention_bwd.py:48:21 @[ attention_bwd.py:200:26 ]
	ds_load_u16_d16_hi v88, v96 offset:7392
	ds_load_u16_d16_hi v89, v96 offset:7520
	ds_load_u16_d16_hi v90, v96 offset:7648
	v_dual_mov_b32 v73, v226 :: v_dual_mov_b32 v74, v227
	.loc	1 52 24                         ; attention_bwd.py:52:24 @[ attention_bwd.py:200:26 ]
	v_wmma_f32_16x16x16_f16 v[64:71], v[147:150], v[135:138], v[64:71]
	v_mov_b32_e32 v75, v228
	s_delay_alu instid0(VALU_DEP_2) | instskip(NEXT) | instid1(VALU_DEP_1)
	v_wmma_f32_16x16x16_f16 v[64:71], v[91:94], v[112:115], v[64:71]
	v_wmma_f32_16x16x16_f16 v[64:71], v[83:86], v[209:212], v[64:71]
	v_mov_b32_e32 v83, v0
	v_lshrrev_b32_e32 v0, 1, v188
	s_delay_alu instid0(VALU_DEP_3)
	v_wmma_f32_16x16x16_f16 v[64:71], v[76:79], v[217:220], v[64:71]
	v_dual_mov_b32 v77, v58 :: v_dual_mov_b32 v78, v59
	v_mov_b32_e32 v76, v57
	v_mov_b32_e32 v220, v160
	s_wait_dscnt 0x5
	v_wmma_f32_16x16x16_f16 v[64:71], v[172:175], v[157:160], v[64:71]
	v_mov_b32_e32 v219, v159
	v_dual_mov_b32 v217, v157 :: v_dual_mov_b32 v218, v158
	s_wait_dscnt 0x3
	s_delay_alu instid0(VALU_DEP_3) | instskip(SKIP_1) | instid1(VALU_DEP_1)
	v_wmma_f32_16x16x16_f16 v[64:71], v[176:179], v[139:142], v[64:71]
	s_wait_dscnt 0x0
	v_wmma_f32_16x16x16_f16 v[64:71], v[87:90], v[131:134], v[64:71]
	s_delay_alu instid0(VALU_DEP_1) | instskip(NEXT) | instid1(VALU_DEP_2)
	v_dual_mov_b32 v79, v60 :: v_dual_sub_f32 v200, v65, v73
	.loc	1 53 32                         ; attention_bwd.py:53:32 @[ attention_bwd.py:200:26 ]
	v_dual_sub_f32 v207, v64, v72 :: v_dual_sub_f32 v206, v66, v74
	.loc	1 73 19                         ; attention_bwd.py:73:19 @[ attention_bwd.py:200:26 ]
	v_add_co_u32 v64, vcc_lo, v61, s20
	s_wait_alu depctr_va_vcc(0)
	v_add_co_ci_u32_e64 v65, null, s21, v62, vcc_lo
	.loc	1 53 32                         ; attention_bwd.py:53:32 @[ attention_bwd.py:200:26 ]
	v_sub_f32_e32 v107, v69, v77
	v_dual_sub_f32 v147, v67, v75 :: v_dual_sub_f32 v144, v68, v76
	.loc	1 58 21                         ; attention_bwd.py:58:21 @[ attention_bwd.py:200:26 ]
	global_load_u16 v16, v[64:65], off
	.loc	1 73 19                         ; attention_bwd.py:73:19 @[ attention_bwd.py:200:26 ]
	v_add_co_u32 v64, vcc_lo, v129, s20
	s_wait_alu depctr_va_vcc(0)
	v_add_co_ci_u32_e64 v65, null, s21, v130, vcc_lo
	.loc	1 53 32                         ; attention_bwd.py:53:32 @[ attention_bwd.py:200:26 ]
	v_sub_f32_e32 v105, v70, v78
	v_sub_f32_e32 v103, v71, v79
	v_mov_b32_e32 v68, v131
	v_dual_mov_b32 v72, v112 :: v_dual_mov_b32 v69, v132
	v_dual_mov_b32 v74, v114 :: v_dual_mov_b32 v73, v113
	;; [unrolled: 1-line block ×3, first 2 shown]
	v_mov_b32_e32 v71, v134
	.loc	1 53 26 is_stmt 0               ; attention_bwd.py:53:26 @[ attention_bwd.py:200:26 ]
	v_exp_f32_e32 v200, v200
	v_exp_f32_e32 v206, v206
	.loc	1 73 19 is_stmt 1               ; attention_bwd.py:73:19 @[ attention_bwd.py:200:26 ]
	s_wait_loadcnt 0x0
	scratch_store_b32 off, v16, off offset:696 ; 4-byte Folded Spill
	.loc	1 58 21                         ; attention_bwd.py:58:21 @[ attention_bwd.py:200:26 ]
	global_load_u16 v16, v[64:65], off
	.loc	1 73 19                         ; attention_bwd.py:73:19 @[ attention_bwd.py:200:26 ]
	v_add_co_u32 v64, vcc_lo, v127, s20
	s_wait_alu depctr_va_vcc(0)
	v_add_co_ci_u32_e64 v65, null, s21, v128, vcc_lo
	s_wait_loadcnt 0x0
	scratch_store_b32 off, v16, off offset:704 ; 4-byte Folded Spill
	.loc	1 58 21                         ; attention_bwd.py:58:21 @[ attention_bwd.py:200:26 ]
	global_load_u16 v16, v[64:65], off
	.loc	1 73 19                         ; attention_bwd.py:73:19 @[ attention_bwd.py:200:26 ]
	v_add_co_u32 v64, vcc_lo, v125, s20
	s_wait_alu depctr_va_vcc(0)
	v_add_co_ci_u32_e64 v65, null, s21, v126, vcc_lo
	;; [unrolled: 8-line block ×12, first 2 shown]
	v_mov_b32_e32 v82, v81
	s_wait_loadcnt 0x0
	scratch_store_b32 off, v16, off offset:768 ; 4-byte Folded Spill
	.loc	1 58 21                         ; attention_bwd.py:58:21 @[ attention_bwd.py:200:26 ]
	global_load_u16 v16, v[64:65], off
	.loc	1 73 19                         ; attention_bwd.py:73:19 @[ attention_bwd.py:200:26 ]
	v_add_co_u32 v64, vcc_lo, v167, s20
	s_wait_alu depctr_va_vcc(0)
	v_add_co_ci_u32_e64 v65, null, s21, v81, vcc_lo
	v_mov_b32_e32 v81, v167
	s_wait_loadcnt 0x0
	scratch_store_b32 off, v16, off offset:772 ; 4-byte Folded Spill
	.loc	1 58 21                         ; attention_bwd.py:58:21 @[ attention_bwd.py:200:26 ]
	global_load_u16 v16, v[64:65], off
	.loc	1 48 21                         ; attention_bwd.py:48:21 @[ attention_bwd.py:200:26 ]
	v_add_co_u32 v64, vcc_lo, v166, s20
	s_wait_alu depctr_va_vcc(0)
	v_add_co_ci_u32_e64 v65, null, s21, v80, vcc_lo
	s_wait_loadcnt 0x0
	scratch_store_b32 off, v16, off offset:776 ; 4-byte Folded Spill
	.loc	1 58 21                         ; attention_bwd.py:58:21 @[ attention_bwd.py:200:26 ]
	global_load_u16 v16, v[64:65], off
	.loc	1 51 24                         ; attention_bwd.py:51:24 @[ attention_bwd.py:200:26 ]
	v_add_nc_u32_e32 v64, s4, v0
	s_delay_alu instid0(VALU_DEP_1) | instskip(NEXT) | instid1(VALU_DEP_1)
	v_ashrrev_i32_e32 v65, 31, v64
	v_lshlrev_b64_e32 v[196:197], 2, v[64:65]
	s_delay_alu instid0(VALU_DEP_1) | instskip(SKIP_1) | instid1(VALU_DEP_2)
	v_add_co_u32 v64, vcc_lo, s44, v196
	s_wait_alu depctr_va_vcc(0)
	v_add_co_ci_u32_e64 v65, null, s45, v197, vcc_lo
	.loc	1 51 20 is_stmt 0               ; attention_bwd.py:51:20 @[ attention_bwd.py:200:26 ]
	global_load_b32 v84, v[64:65], off
	v_add_co_u32 v64, s24, s4, v0
	s_wait_alu depctr_va_sdst(0)
	v_add_co_ci_u32_e64 v65, null, s5, 0, s24
	.loc	1 53 26 is_stmt 1               ; attention_bwd.py:53:26 @[ attention_bwd.py:200:26 ]
	v_exp_f32_e32 v0, v145
	.loc	1 47 25                         ; attention_bwd.py:47:25 @[ attention_bwd.py:200:26 ]
	s_add_co_i32 s4, s4, 32
	s_wait_alu depctr_sa_sdst(0)
	s_cmp_lg_u32 s1, 0
	.loc	1 51 24                         ; attention_bwd.py:51:24 @[ attention_bwd.py:200:26 ]
	v_lshlrev_b64_e32 v[198:199], 2, v[64:65]
	s_delay_alu instid0(VALU_DEP_1) | instskip(SKIP_1) | instid1(VALU_DEP_2)
	v_add_co_u32 v64, vcc_lo, s44, v198
	s_wait_alu depctr_va_vcc(0)
	v_add_co_ci_u32_e64 v65, null, s45, v199, vcc_lo
	.loc	1 51 20 is_stmt 0               ; attention_bwd.py:51:20 @[ attention_bwd.py:200:26 ]
	s_clause 0x2
	global_load_b128 v[76:79], v[64:65], off offset:4
	global_load_b128 v[97:100], v[64:65], off offset:64
	global_load_b128 v[57:60], v[64:65], off offset:80
	v_dual_mov_b32 v191, v80 :: v_dual_mov_b32 v80, v166
	s_wait_loadcnt 0x4
	scratch_store_b32 off, v16, off offset:780 ; 4-byte Folded Spill
	global_load_b96 v[16:18], v[64:65], off offset:20
	v_dual_mov_b32 v64, v139 :: v_dual_mov_b32 v65, v140
	v_dual_mov_b32 v66, v141 :: v_dual_mov_b32 v67, v142
	s_wait_loadcnt 0x0
	scratch_store_b96 off, v[16:18], off offset:784 ; 12-byte Folded Spill
	.loc	1 69 26 is_stmt 1               ; attention_bwd.py:69:26 @[ attention_bwd.py:200:26 ]
	ds_load_b128 v[172:175], v241
	ds_load_b128 v[16:19], v241 offset:32
	s_wait_dscnt 0x0
	scratch_store_b128 off, v[16:19], off offset:844 ; 16-byte Folded Spill
	ds_load_b128 v[176:179], v241 offset:2048
	ds_load_b128 v[16:19], v241 offset:2080
	s_wait_dscnt 0x0
	scratch_store_b128 off, v[16:19], off offset:796 ; 16-byte Folded Spill
	ds_load_b128 v[85:88], v241 offset:4096
	;; [unrolled: 4-line block ×3, first 2 shown]
	ds_load_b128 v[16:19], v241 offset:6176
	.loc	1 66 24                         ; attention_bwd.py:66:24 @[ attention_bwd.py:200:26 ]
	s_wait_dscnt 0x0
	scratch_store_b128 off, v[16:19], off offset:828 ; 16-byte Folded Spill
	v_dual_mov_b32 v16, v237 :: v_dual_mov_b32 v17, v238
	v_dual_mov_b32 v18, v239 :: v_dual_mov_b32 v19, v240
	s_wait_storecnt 0x0
	s_barrier_signal -1
	s_barrier_wait -1
	global_inv scope:SCOPE_SE
	s_clause 0x1                            ; 32-byte Folded Reload
	scratch_load_b128 v[112:115], off, off offset:80
	scratch_load_b128 v[225:228], off, off offset:64
	ds_load_b128 v[131:134], v204 offset:12288
	ds_load_b128 v[139:142], v204 offset:12320
	ds_load_b128 v[135:138], v204 offset:12352
	scratch_load_b128 v[242:245], off, off offset:892 ; 16-byte Folded Reload
	ds_load_b128 v[156:159], v204 offset:8416
	s_wait_loadcnt_dscnt 0x203
	v_wmma_f32_16x16x16_f16 v[148:155], v[131:134], v[112:115], 0
	s_wait_loadcnt_dscnt 0x102
	s_delay_alu instid0(VALU_DEP_1) | instskip(SKIP_2) | instid1(VALU_DEP_2)
	v_wmma_f32_16x16x16_f16 v[148:155], v[139:142], v[225:228], v[148:155]
	v_mov_b32_e32 v139, v186
	s_wait_dscnt 0x1
	v_wmma_f32_16x16x16_f16 v[148:155], v[135:138], v[213:216], v[148:155]
	ds_load_b128 v[131:134], v204 offset:12384
	ds_load_b128 v[135:138], v204 offset:12416
	s_wait_dscnt 0x1
	v_wmma_f32_16x16x16_f16 v[148:155], v[131:134], v[237:240], v[148:155]
	v_dual_mov_b32 v240, v216 :: v_dual_mov_b32 v239, v215
	v_dual_mov_b32 v238, v214 :: v_dual_mov_b32 v237, v213
	;; [unrolled: 1-line block ×4, first 2 shown]
	scratch_load_b128 v[9:12], off, off offset:876 ; 16-byte Folded Reload
	s_wait_loadcnt_dscnt 0x0
	v_wmma_f32_16x16x16_f16 v[148:155], v[135:138], v[9:12], v[148:155]
	ds_load_b128 v[131:134], v204 offset:12448
	ds_load_b128 v[135:138], v204 offset:12480
	s_wait_dscnt 0x1
	v_wmma_f32_16x16x16_f16 v[148:155], v[131:134], v[246:249], v[148:155]
	ds_load_b128 v[131:134], v204 offset:12512
	s_wait_dscnt 0x1
	v_wmma_f32_16x16x16_f16 v[148:155], v[135:138], v[213:216], v[148:155]
	v_mov_b32_e32 v138, v164
	v_mov_b32_e32 v136, v162
	ds_load_b128 v[164:167], v204 offset:8256
	s_wait_dscnt 0x1
	v_wmma_f32_16x16x16_f16 v[148:155], v[131:134], v[242:245], v[148:155]
	v_dual_mov_b32 v133, v223 :: v_dual_mov_b32 v134, v224
	v_dual_mov_b32 v187, v14 :: v_dual_mov_b32 v14, v188
	s_delay_alu instid0(VALU_DEP_2)
	v_dual_mov_b32 v137, v163 :: v_dual_sub_f32 v208, v150, v133
	.loc	1 58 21                         ; attention_bwd.py:58:21 @[ attention_bwd.py:200:26 ]
	ds_load_u16 v133, v205 offset:13440
	v_mov_b32_e32 v131, v221
	.loc	1 67 26                         ; attention_bwd.py:67:26 @[ attention_bwd.py:200:26 ]
	v_sub_f32_e32 v111, v155, v138
	.loc	1 58 21                         ; attention_bwd.py:58:21 @[ attention_bwd.py:200:26 ]
	s_wait_dscnt 0x0
	ds_load_u16_d16_hi v133, v205 offset:13696
	ds_load_u16 v138, v205 offset:13824
	s_wait_dscnt 0x0
	ds_load_u16_d16_hi v138, v205 offset:14080
	ds_load_u16 v142, v205 offset:14016
	v_dual_mov_b32 v132, v222 :: v_dual_mov_b32 v135, v161
	.loc	1 67 26                         ; attention_bwd.py:67:26 @[ attention_bwd.py:200:26 ]
	v_sub_f32_e32 v188, v148, v131
	v_dual_sub_f32 v40, v151, v134 :: v_dual_sub_f32 v109, v153, v136
	s_delay_alu instid0(VALU_DEP_3) | instskip(NEXT) | instid1(VALU_DEP_4)
	v_dual_sub_f32 v203, v149, v132 :: v_dual_sub_f32 v110, v154, v137
	v_sub_f32_e32 v193, v152, v135
	.loc	1 58 21                         ; attention_bwd.py:58:21 @[ attention_bwd.py:200:26 ]
	s_wait_dscnt 0x0
	ds_load_u16_d16_hi v142, v205 offset:14272
	.loc	1 66 24                         ; attention_bwd.py:66:24 @[ attention_bwd.py:200:26 ]
	ds_load_b128 v[134:137], v204 offset:8192
	ds_load_b128 v[160:163], v204 offset:8224
	v_mov_b32_e32 v132, v169
	s_wait_dscnt 0x1
	v_wmma_f32_16x16x16_f16 v[148:155], v[134:137], v[112:115], 0
	v_mov_b32_e32 v115, v75
	v_dual_mov_b32 v113, v73 :: v_dual_mov_b32 v112, v72
	s_wait_dscnt 0x0
	s_delay_alu instid0(VALU_DEP_3)
	v_wmma_f32_16x16x16_f16 v[148:155], v[160:163], v[225:228], v[148:155]
	ds_load_b128 v[134:137], v204 offset:8288
	ds_load_b128 v[160:163], v204 offset:8320
	v_dual_mov_b32 v228, v100 :: v_dual_mov_b32 v227, v99
	v_mov_b32_e32 v226, v98
	v_wmma_f32_16x16x16_f16 v[148:155], v[164:167], v[237:240], v[148:155]
	v_mov_b32_e32 v114, v74
	s_wait_dscnt 0x1
	s_delay_alu instid0(VALU_DEP_2) | instskip(SKIP_3) | instid1(VALU_DEP_3)
	v_wmma_f32_16x16x16_f16 v[148:155], v[134:137], v[16:19], v[148:155]
	v_dual_mov_b32 v23, v8 :: v_dual_mov_b32 v22, v7
	v_dual_mov_b32 v21, v6 :: v_dual_mov_b32 v20, v5
	s_wait_dscnt 0x0
	v_wmma_f32_16x16x16_f16 v[148:155], v[160:163], v[9:12], v[148:155]
	ds_load_b128 v[134:137], v204 offset:8352
	ds_load_b128 v[160:163], v204 offset:8384
	v_dual_mov_b32 v19, v4 :: v_dual_mov_b32 v18, v3
	v_dual_mov_b32 v17, v2 :: v_dual_mov_b32 v16, v1
	.loc	1 53 26                         ; attention_bwd.py:53:26 @[ attention_bwd.py:200:26 ]
	v_exp_f32_e32 v1, v146
	.loc	1 61 21                         ; attention_bwd.py:61:21 @[ attention_bwd.py:200:26 ]
	v_cvt_f16_f32_e32 v2, v0
	.loc	1 53 26                         ; attention_bwd.py:53:26 @[ attention_bwd.py:200:26 ]
	v_exp_f32_e32 v8, v144
	v_exp_f32_e32 v10, v107
	s_delay_alu instid0(TRANS32_DEP_3)
	.loc	1 61 21                         ; attention_bwd.py:61:21 @[ attention_bwd.py:200:26 ]
	v_cvt_f16_f32_e32 v3, v1
	ds_store_b16 v194, v2 offset:16384
	.loc	1 53 26                         ; attention_bwd.py:53:26 @[ attention_bwd.py:200:26 ]
	v_exp_f32_e32 v2, v108
	.loc	1 61 21                         ; attention_bwd.py:61:21 @[ attention_bwd.py:200:26 ]
	v_cvt_f16_f32_e32 v9, v8
	.loc	1 66 24                         ; attention_bwd.py:66:24 @[ attention_bwd.py:200:26 ]
	s_wait_dscnt 0x2
	v_wmma_f32_16x16x16_f16 v[148:155], v[134:137], v[246:249], v[148:155]
	v_mov_b32_e32 v134, v170
	.loc	1 53 26                         ; attention_bwd.py:53:26 @[ attention_bwd.py:200:26 ]
	v_exp_f32_e32 v108, v207
	v_exp_f32_e32 v207, v147
	.loc	1 61 21                         ; attention_bwd.py:61:21 @[ attention_bwd.py:200:26 ]
	v_cvt_f16_f32_e32 v11, v10
	.loc	1 66 24                         ; attention_bwd.py:66:24 @[ attention_bwd.py:200:26 ]
	s_wait_dscnt 0x1
	v_wmma_f32_16x16x16_f16 v[148:155], v[160:163], v[213:216], v[148:155]
	.loc	1 61 21                         ; attention_bwd.py:61:21 @[ attention_bwd.py:200:26 ]
	ds_store_b16 v194, v9 offset:18944
	.loc	1 53 26                         ; attention_bwd.py:53:26 @[ attention_bwd.py:200:26 ]
	v_exp_f32_e32 v9, v105
	.loc	1 61 21                         ; attention_bwd.py:61:21 @[ attention_bwd.py:200:26 ]
	v_cvt_f16_f32_e32 v4, v2
	ds_store_b16 v194, v3 offset:16512
	.loc	1 66 24                         ; attention_bwd.py:66:24 @[ attention_bwd.py:200:26 ]
	v_wmma_f32_16x16x16_f16 v[148:155], v[156:159], v[242:245], v[148:155]
	v_mov_b32_e32 v131, v168
	v_mov_b32_e32 v137, v185
	;; [unrolled: 1-line block ×3, first 2 shown]
	.loc	1 53 26                         ; attention_bwd.py:53:26 @[ attention_bwd.py:200:26 ]
	v_exp_f32_e32 v3, v106
	s_delay_alu instid0(VALU_DEP_3)
	.loc	1 67 26                         ; attention_bwd.py:67:26 @[ attention_bwd.py:200:26 ]
	v_dual_sub_f32 v166, v150, v132 :: v_dual_sub_f32 v165, v149, v131
	v_sub_f32_e32 v167, v151, v134
	v_sub_f32_e32 v171, v155, v139
	v_dual_mov_b32 v225, v97 :: v_dual_sub_f32 v164, v148, v13
	.loc	1 61 21                         ; attention_bwd.py:61:21 @[ attention_bwd.py:200:26 ]
	ds_store_b16 v194, v11 offset:19072
	.loc	1 53 26                         ; attention_bwd.py:53:26 @[ attention_bwd.py:200:26 ]
	v_exp_f32_e32 v11, v103
	.loc	1 61 21                         ; attention_bwd.py:61:21 @[ attention_bwd.py:200:26 ]
	v_cvt_f16_f32_e32 v12, v9
	v_cvt_f16_f32_e32 v5, v3
	ds_store_b16 v194, v4 offset:16640
	.loc	1 53 26                         ; attention_bwd.py:53:26 @[ attention_bwd.py:200:26 ]
	v_exp_f32_e32 v4, v104
	v_mov_b32_e32 v136, v184
	.loc	1 67 26                         ; attention_bwd.py:67:26 @[ attention_bwd.py:200:26 ]
	v_sub_f32_e32 v170, v154, v137
	v_sub_f32_e32 v168, v152, v135
	.loc	1 68 21                         ; attention_bwd.py:68:21 @[ attention_bwd.py:200:26 ]
	v_fma_mixlo_f16 v0, v0, v164, 0
	v_fma_mixlo_f16 v8, v8, v193, 0
	.loc	1 61 21                         ; attention_bwd.py:61:21 @[ attention_bwd.py:200:26 ]
	v_cvt_f16_f32_e32 v13, v11
	ds_store_b16 v194, v12 offset:19200
	ds_store_b16 v194, v13 offset:19328
	v_cvt_f16_f32_e32 v6, v4
	ds_store_b16 v194, v5 offset:16768
	.loc	1 53 26                         ; attention_bwd.py:53:26 @[ attention_bwd.py:200:26 ]
	v_exp_f32_e32 v5, v102
	.loc	1 67 26                         ; attention_bwd.py:67:26 @[ attention_bwd.py:200:26 ]
	v_sub_f32_e32 v169, v153, v136
	.loc	1 68 21                         ; attention_bwd.py:68:21 @[ attention_bwd.py:200:26 ]
	v_fma_mixlo_f16 v4, v4, v168, 0
	v_fma_mixlo_f16 v12, v108, v188, 0
	v_mov_b32_e32 v188, v14
	v_fma_mixlo_f16 v14, v206, v208, 0
	v_fma_mixlo_f16 v1, v1, v165, 0
	;; [unrolled: 1-line block ×5, first 2 shown]
	.loc	1 61 21                         ; attention_bwd.py:61:21 @[ attention_bwd.py:200:26 ]
	v_cvt_f16_f32_e32 v7, v5
	ds_store_b16 v194, v6 offset:16896
	.loc	1 53 26                         ; attention_bwd.py:53:26 @[ attention_bwd.py:200:26 ]
	v_exp_f32_e32 v6, v101
	.loc	1 68 21                         ; attention_bwd.py:68:21 @[ attention_bwd.py:200:26 ]
	v_fma_mixlo_f16 v3, v3, v167, 0
	v_fma_mixlo_f16 v11, v11, v111, 0
	.loc	1 61 21                         ; attention_bwd.py:61:21 @[ attention_bwd.py:200:26 ]
	ds_store_b16 v194, v7 offset:17024
	.loc	1 53 26                         ; attention_bwd.py:53:26 @[ attention_bwd.py:200:26 ]
	v_exp_f32_e32 v7, v63
	.loc	1 68 21                         ; attention_bwd.py:68:21 @[ attention_bwd.py:200:26 ]
	v_fma_mixlo_f16 v13, v200, v203, 0
	v_dual_mov_b32 v245, v79 :: v_dual_mov_b32 v166, v80
	v_dual_mov_b32 v244, v78 :: v_dual_mov_b32 v243, v77
	v_mov_b32_e32 v80, v191
	.loc	1 61 21                         ; attention_bwd.py:61:21 @[ attention_bwd.py:200:26 ]
	v_cvt_f16_f32_e32 v101, v6
	.loc	1 68 21                         ; attention_bwd.py:68:21 @[ attention_bwd.py:200:26 ]
	v_fma_mixlo_f16 v6, v6, v170, 0
	v_mov_b32_e32 v242, v76
	s_delay_alu instid0(TRANS32_DEP_1)
	.loc	1 61 21                         ; attention_bwd.py:61:21 @[ attention_bwd.py:200:26 ]
	v_cvt_f16_f32_e32 v100, v7
	ds_store_b16 v194, v101 offset:17152
	ds_store_b16 v194, v100 offset:17280
	v_cvt_f16_f32_e32 v100, v108
	v_cvt_f16_f32_e64 v101, v200
	.loc	1 68 21                         ; attention_bwd.py:68:21 @[ attention_bwd.py:200:26 ]
	v_fma_mixlo_f16 v7, v7, v171, 0
	v_dual_mov_b32 v108, v209 :: v_dual_mov_b32 v109, v210
	.loc	1 61 21                         ; attention_bwd.py:61:21 @[ attention_bwd.py:200:26 ]
	ds_store_b16 v194, v100 offset:18432
	v_cvt_f16_f32_e64 v100, v206
	ds_store_b16 v194, v101 offset:18560
	v_cvt_f16_f32_e64 v101, v207
	v_dual_mov_b32 v111, v212 :: v_dual_mov_b32 v110, v211
	ds_store_b16 v194, v100 offset:18688
	ds_store_b16 v194, v101 offset:18816
	.loc	1 58 21                         ; attention_bwd.py:58:21 @[ attention_bwd.py:200:26 ]
	ds_load_u16 v134, v205 offset:13952
	ds_load_u16 v136, v205 offset:12800
	;; [unrolled: 1-line block ×28, first 2 shown]
	s_wait_dscnt 0x18
	ds_load_u16_d16_hi v101, v205 offset:9152
	ds_load_u16 v100, v205 offset:8384
	ds_load_u16_d16_hi v134, v205 offset:14208
	s_wait_dscnt 0x1a
	ds_load_u16_d16_hi v106, v205 offset:9600
	s_wait_dscnt 0x19
	ds_load_u16_d16_hi v147, v205 offset:9984
	ds_load_u16_d16_hi v107, v205 offset:10112
	s_wait_dscnt 0x17
	ds_load_u16_d16_hi v135, v205 offset:12544
	s_wait_dscnt 0x16
	ds_load_u16_d16_hi v131, v205 offset:12672
	;; [unrolled: 5-line block ×3, first 2 shown]
	ds_load_u16_d16_hi v146, v205 offset:9472
	s_wait_dscnt 0xf
	ds_load_u16_d16_hi v145, v205 offset:8960
	ds_load_u16_d16_hi v144, v205 offset:8448
	s_wait_dscnt 0x10
	ds_load_u16_d16_hi v148, v205 offset:8512
	s_wait_dscnt 0x10
	;; [unrolled: 2-line block ×3, first 2 shown]
	ds_load_u16_d16_hi v100, v205 offset:8640
	ds_load_u16_d16_hi v149, v205 offset:9024
	;; [unrolled: 1-line block ×14, first 2 shown]
	.loc	1 61 21                         ; attention_bwd.py:61:21 @[ attention_bwd.py:200:26 ]
	s_wait_dscnt 0x0
	s_barrier_signal -1
	s_barrier_wait -1
	global_inv scope:SCOPE_SE
	ds_load_u16 v156, v195 offset:16384
	ds_load_u16 v157, v195 offset:16640
	;; [unrolled: 1-line block ×8, first 2 shown]
	s_wait_dscnt 0x7
	ds_load_u16_d16_hi v156, v195 offset:16512
	s_wait_dscnt 0x7
	ds_load_u16_d16_hi v157, v195 offset:16768
	;; [unrolled: 2-line block ×8, first 2 shown]
	scratch_load_b32 v72, off, off offset:528 th:TH_LOAD_LU ; 4-byte Folded Reload
	.loc	1 62 26                         ; attention_bwd.py:62:26 @[ attention_bwd.py:200:26 ]
	s_wait_dscnt 0x4
	v_wmma_f32_16x16x16_f16 v[32:39], v[100:103], v[156:159], v[32:39]
	.loc	1 64 25                         ; attention_bwd.py:64:25 @[ attention_bwd.py:200:26 ]
	v_add_co_u32 v100, vcc_lo, s6, v198
	.loc	1 62 26                         ; attention_bwd.py:62:26 @[ attention_bwd.py:200:26 ]
	v_wmma_f32_16x16x16_f16 v[41:48], v[144:147], v[156:159], v[41:48]
	v_wmma_f32_16x16x16_f16 v[229:236], v[148:151], v[156:159], v[229:236]
	;; [unrolled: 1-line block ×3, first 2 shown]
	.loc	1 64 25                         ; attention_bwd.py:64:25 @[ attention_bwd.py:200:26 ]
	s_wait_alu depctr_va_vcc(0)
	v_add_co_ci_u32_e64 v101, null, s7, v199, vcc_lo
	v_add_co_u32 v102, vcc_lo, s6, v196
	s_wait_alu depctr_va_vcc(0)
	v_add_co_ci_u32_e64 v103, null, s7, v197, vcc_lo
	.loc	1 62 26                         ; attention_bwd.py:62:26 @[ attention_bwd.py:200:26 ]
	s_wait_dscnt 0x0
	v_wmma_f32_16x16x16_f16 v[41:48], v[135:138], v[160:163], v[41:48]
	v_wmma_f32_16x16x16_f16 v[229:236], v[152:155], v[160:163], v[229:236]
	;; [unrolled: 1-line block ×3, first 2 shown]
	v_mov_b32_e32 v134, v71
	v_wmma_f32_16x16x16_f16 v[32:39], v[139:142], v[160:163], v[32:39]
	v_dual_mov_b32 v157, v217 :: v_dual_mov_b32 v142, v67
	s_clause 0x3                            ; 64-byte Folded Reload
	scratch_load_b128 v[135:138], off, off offset:940
	scratch_load_b128 v[196:199], off, off offset:860
	scratch_load_b128 v[149:152], off, off offset:112 th:TH_LOAD_LU
	scratch_load_b128 v[153:156], off, off offset:128 th:TH_LOAD_LU
	v_dual_mov_b32 v133, v70 :: v_dual_mov_b32 v140, v65
	v_dual_mov_b32 v132, v69 :: v_dual_mov_b32 v131, v68
	;; [unrolled: 1-line block ×3, first 2 shown]
	v_mov_b32_e32 v160, v220
	scratch_load_b128 v[217:220], off, off offset:96 ; 16-byte Folded Reload
	v_mov_b32_e32 v141, v66
	v_mov_b32_e32 v139, v64
	s_clause 0x2                            ; 12-byte Folded Reload
	scratch_load_b32 v71, off, off offset:520 th:TH_LOAD_LU
	scratch_load_b32 v70, off, off offset:512 th:TH_LOAD_LU
	;; [unrolled: 1-line block ×3, first 2 shown]
	.loc	1 68 21                         ; attention_bwd.py:68:21 @[ attention_bwd.py:200:26 ]
	v_fma_mixlo_f16 v5, v5, v169, 0
	scratch_load_b128 v[237:240], off, off offset:32 ; 16-byte Folded Reload
	.loc	1 64 21                         ; attention_bwd.py:64:21 @[ attention_bwd.py:200:26 ]
	s_clause 0x4
	global_load_b32 v64, v[102:103], off
	global_load_b96 v[184:186], v[100:101], off offset:20
	global_load_b128 v[168:171], v[100:101], off offset:4
	global_load_b128 v[221:224], v[100:101], off offset:64
	;; [unrolled: 1-line block ×3, first 2 shown]
	v_mov_b32_e32 v65, v15
	.loc	1 68 21                         ; attention_bwd.py:68:21 @[ attention_bwd.py:200:26 ]
	v_fma_mixlo_f16 v15, v207, v40, 0
	v_mov_b32_e32 v165, v84
	v_mov_b32_e32 v167, v81
	v_dual_mov_b32 v81, v82 :: v_dual_mov_b32 v82, v143
	.loc	1 47 25                         ; attention_bwd.py:47:25 @[ attention_bwd.py:200:26 ]
	v_add_co_u32 v166, vcc_lo, v166, s2
	s_wait_alu depctr_va_vcc(0)
	v_add_co_ci_u32_e64 v80, null, s3, v80, vcc_lo
	.loc	1 68 21                         ; attention_bwd.py:68:21 @[ attention_bwd.py:200:26 ]
	s_wait_loadcnt 0x0
	s_barrier_signal -1
	s_barrier_wait -1
	global_inv scope:SCOPE_SE
	ds_store_b16 v194, v0 offset:16384
	ds_store_b16 v194, v14 offset:18688
	;; [unrolled: 1-line block ×13, first 2 shown]
	v_mov_b32_e32 v1, v16
	v_dual_mov_b32 v13, v64 :: v_dual_mov_b32 v8, v23
	v_dual_mov_b32 v2, v17 :: v_dual_mov_b32 v3, v18
	;; [unrolled: 1-line block ×4, first 2 shown]
	s_clause 0x2                            ; 48-byte Folded Reload
	scratch_load_b128 v[16:19], off, off th:TH_LOAD_LU
	scratch_load_b128 v[20:23], off, off offset:16 th:TH_LOAD_LU
	scratch_load_b128 v[213:216], off, off offset:48
	ds_store_b16 v194, v10 offset:19072
	ds_store_b16 v194, v9 offset:19200
	;; [unrolled: 1-line block ×3, first 2 shown]
	scratch_load_b128 v[9:12], off, off offset:908 ; 16-byte Folded Reload
	v_mov_b32_e32 v0, v83
	.loc	1 47 25                         ; attention_bwd.py:47:25 @[ attention_bwd.py:200:26 ]
	v_add_co_u32 v167, vcc_lo, v167, s2
	s_wait_alu depctr_va_vcc(0)
	v_add_co_ci_u32_e64 v81, null, s3, v81, vcc_lo
	v_add_co_u32 v82, vcc_lo, v82, s2
	s_wait_alu depctr_va_vcc(0)
	v_add_co_ci_u32_e64 v250, null, s3, v250, vcc_lo
	;; [unrolled: 3-line block ×13, first 2 shown]
	v_add_co_u32 v129, vcc_lo, v129, s2
	v_dual_mov_b32 v14, v187 :: v_dual_mov_b32 v15, v65
	s_wait_alu depctr_va_vcc(0)
	v_add_co_ci_u32_e64 v130, null, s3, v130, vcc_lo
	v_add_co_u32 v61, vcc_lo, v61, s2
	s_wait_alu depctr_va_vcc(0)
	v_add_co_ci_u32_e64 v62, null, s3, v62, vcc_lo
	v_add_co_u32 v0, vcc_lo, v0, s2
	s_wait_alu depctr_va_vcc(0)
	v_add_co_ci_u32_e64 v14, null, s3, v14, vcc_lo
	v_add_co_u32 v15, vcc_lo, v15, s2
	.loc	1 68 21                         ; attention_bwd.py:68:21 @[ attention_bwd.py:200:26 ]
	s_wait_loadcnt_dscnt 0x0
	s_barrier_signal -1
	s_barrier_wait -1
	global_inv scope:SCOPE_SE
	ds_load_u16 v100, v195 offset:16384
	ds_load_u16 v101, v195 offset:16640
	;; [unrolled: 1-line block ×8, first 2 shown]
	s_wait_dscnt 0x7
	ds_load_u16_d16_hi v100, v195 offset:16512
	s_wait_dscnt 0x7
	ds_load_u16_d16_hi v101, v195 offset:16768
	;; [unrolled: 2-line block ×8, first 2 shown]
	scratch_load_b32 v63, off, off offset:560 th:TH_LOAD_LU ; 4-byte Folded Reload
	.loc	1 69 26                         ; attention_bwd.py:69:26 @[ attention_bwd.py:200:26 ]
	s_wait_dscnt 0x4
	v_wmma_f32_16x16x16_f16 v[1:8], v[172:175], v[100:103], v[1:8]
	v_wmma_f32_16x16x16_f16 v[16:23], v[176:179], v[100:103], v[16:23]
	v_wmma_f32_16x16x16_f16 v[24:31], v[85:88], v[100:103], v[24:31]
	v_wmma_f32_16x16x16_f16 v[149:156], v[91:94], v[100:103], v[149:156]
	s_clause 0x9                            ; 52-byte Folded Reload
	scratch_load_b32 v100, off, off offset:552 th:TH_LOAD_LU
	scratch_load_b32 v94, off, off offset:480 th:TH_LOAD_LU
	;; [unrolled: 1-line block ×5, first 2 shown]
	scratch_load_b128 v[73:76], off, off offset:844 th:TH_LOAD_LU
	scratch_load_b32 v86, off, off offset:352 th:TH_LOAD_LU
	scratch_load_b32 v85, off, off offset:336 th:TH_LOAD_LU
	scratch_load_b32 v84, off, off offset:320 th:TH_LOAD_LU
	scratch_load_b32 v83, off, off offset:304 th:TH_LOAD_LU
	v_mov_b32_e32 v101, v95
	s_wait_loadcnt_dscnt 0x400
	v_wmma_f32_16x16x16_f16 v[1:8], v[73:76], v[104:107], v[1:8]
	s_clause 0x4                            ; 32-byte Folded Reload
	scratch_load_b32 v79, off, off offset:288 th:TH_LOAD_LU
	scratch_load_b32 v78, off, off offset:272 th:TH_LOAD_LU
	;; [unrolled: 1-line block ×4, first 2 shown]
	scratch_load_b128 v[87:90], off, off offset:796 th:TH_LOAD_LU
	s_wait_loadcnt 0x0
	v_wmma_f32_16x16x16_f16 v[16:23], v[87:90], v[104:107], v[16:23]
	s_clause 0x1                            ; 32-byte Folded Spill
	scratch_store_b128 off, v[16:19], off
	scratch_store_b128 off, v[20:23], off offset:16
	scratch_load_b128 v[16:19], off, off offset:812 th:TH_LOAD_LU ; 16-byte Folded Reload
	s_wait_loadcnt 0x0
	v_nop
	v_wmma_f32_16x16x16_f16 v[24:31], v[16:19], v[104:107], v[24:31]
	scratch_load_b128 v[16:19], off, off offset:828 th:TH_LOAD_LU ; 16-byte Folded Reload
	s_wait_loadcnt 0x0
	v_wmma_f32_16x16x16_f16 v[149:156], v[16:19], v[104:107], v[149:156]
	.loc	1 48 21                         ; attention_bwd.py:48:21 @[ attention_bwd.py:200:26 ]
	s_clause 0x8                            ; 44-byte Folded Reload
	scratch_load_b32 v90, off, off offset:416 th:TH_LOAD_LU
	scratch_load_b32 v89, off, off offset:400 th:TH_LOAD_LU
	;; [unrolled: 1-line block ×4, first 2 shown]
	scratch_load_b96 v[103:105], off, off offset:784
	scratch_load_b32 v99, off, off offset:544 th:TH_LOAD_LU
	scratch_load_b32 v98, off, off offset:536 th:TH_LOAD_LU
	;; [unrolled: 1-line block ×4, first 2 shown]
	s_wait_loadcnt 0x0
	ds_store_b16 v252, v16
	s_clause 0x1                            ; 8-byte Folded Reload
	scratch_load_b32 v16, off, off offset:576 th:TH_LOAD_LU
	scratch_load_b32 v95, off, off offset:488 th:TH_LOAD_LU
	s_wait_loadcnt 0x1
	ds_store_b16 v252, v16 offset:512
	scratch_load_b32 v16, off, off offset:584 th:TH_LOAD_LU ; 4-byte Folded Reload
	s_wait_loadcnt 0x0
	ds_store_b16 v252, v16 offset:1024
	scratch_load_b32 v16, off, off offset:592 th:TH_LOAD_LU ; 4-byte Folded Reload
	;; [unrolled: 3-line block ×14, first 2 shown]
	s_wait_loadcnt 0x0
	ds_store_b16 v252, v16 offset:7680
	.loc	1 58 21                         ; attention_bwd.py:58:21 @[ attention_bwd.py:200:26 ]
	scratch_load_b32 v16, off, off offset:696 th:TH_LOAD_LU ; 4-byte Folded Reload
	s_wait_loadcnt 0x0
	ds_store_b16 v252, v16 offset:8192
	scratch_load_b32 v16, off, off offset:704 th:TH_LOAD_LU ; 4-byte Folded Reload
	s_wait_loadcnt 0x0
	ds_store_b16 v252, v16 offset:8704
	;; [unrolled: 3-line block ×14, first 2 shown]
	s_clause 0x1                            ; 8-byte Folded Reload
	scratch_load_b32 v74, off, off offset:144 th:TH_LOAD_LU
	scratch_load_b32 v16, off, off offset:776 th:TH_LOAD_LU
	.loc	1 47 25                         ; attention_bwd.py:47:25 @[ attention_bwd.py:200:26 ]
	s_wait_loadcnt 0x1
	s_wait_alu depctr_va_vcc(0)
	v_add_co_ci_u32_e64 v74, null, s3, v74, vcc_lo
	.loc	1 58 21                         ; attention_bwd.py:58:21 @[ attention_bwd.py:200:26 ]
	s_wait_loadcnt 0x0
	ds_store_b16 v252, v16 offset:15360
	s_clause 0x1                            ; 8-byte Folded Reload
	scratch_load_b32 v75, off, off offset:176 th:TH_LOAD_LU
	scratch_load_b32 v16, off, off offset:780 th:TH_LOAD_LU
	.loc	1 47 25                         ; attention_bwd.py:47:25 @[ attention_bwd.py:200:26 ]
	s_wait_loadcnt 0x1
	v_add_co_u32 v75, vcc_lo, v75, s2
	s_wait_alu depctr_va_vcc(0)
	v_add_co_ci_u32_e64 v76, null, s3, v76, vcc_lo
	v_add_co_u32 v77, vcc_lo, v77, s2
	s_wait_alu depctr_va_vcc(0)
	v_add_co_ci_u32_e64 v78, null, s3, v78, vcc_lo
	;; [unrolled: 3-line block ×14, first 2 shown]
	.loc	1 58 21                         ; attention_bwd.py:58:21 @[ attention_bwd.py:200:26 ]
	s_wait_loadcnt 0x0
	ds_store_b16 v252, v16 offset:15872
	.loc	1 47 25                         ; attention_bwd.py:47:25 @[ attention_bwd.py:200:26 ]
	s_cbranch_scc1 .LBB0_135
; %bb.136:                              ; %Flow2107
	.loc	1 0 25 is_stmt 0                ; attention_bwd.py:0:25
	s_clause 0x2                            ; 44-byte Folded Spill
	scratch_store_b128 off, v[161:164], off offset:320
	scratch_store_b96 off, v[184:186], off offset:288
	scratch_store_b128 off, v[168:171], off offset:272
	s_clause 0x6                            ; 40-byte Folded Reload
	scratch_load_b32 v184, off, off offset:956
	scratch_load_b32 v193, off, off offset:1260
	;; [unrolled: 1-line block ×4, first 2 shown]
	scratch_load_b128 v[189:192], off, off offset:876
	scratch_load_b32 v14, off, off offset:1264
	scratch_load_b32 v64, off, off offset:1268
	s_clause 0x5                            ; 96-byte Folded Spill
	scratch_store_b128 off, v[41:44], off offset:176
	scratch_store_b128 off, v[45:48], off offset:192
	;; [unrolled: 1-line block ×6, first 2 shown]
	v_readlane_b32 s84, v253, 8
	v_readlane_b32 s82, v253, 6
	v_dual_mov_b32 v36, v225 :: v_dual_mov_b32 v37, v226
	v_dual_mov_b32 v40, v229 :: v_dual_mov_b32 v41, v230
	v_readlane_b32 s88, v253, 12
	v_readlane_b32 s89, v253, 13
	;; [unrolled: 1-line block ×5, first 2 shown]
	v_dual_mov_b32 v38, v227 :: v_dual_mov_b32 v39, v228
	v_dual_mov_b32 v42, v231 :: v_dual_mov_b32 v43, v232
	;; [unrolled: 1-line block ×4, first 2 shown]
	s_mov_b32 s2, s100
	v_readlane_b32 s85, v253, 9
	v_readlane_b32 s86, v253, 10
	;; [unrolled: 1-line block ×3, first 2 shown]
	s_branch .LBB0_138
.LBB0_137:
	s_clause 0x2                            ; 44-byte Folded Spill
	scratch_store_b128 off, v[161:164], off offset:320
	scratch_store_b96 off, v[66:68], off offset:288
	scratch_store_b128 off, v[168:171], off offset:272
.LBB0_138:                              ; %._crit_edge
	s_clause 0x5                            ; 84-byte Folded Spill
	scratch_store_b128 off, v[221:224], off offset:304
	scratch_store_b32 off, v13, off offset:336
	scratch_store_b128 off, v[149:152], off offset:112
	scratch_store_b128 off, v[153:156], off offset:128
	;; [unrolled: 1-line block ×4, first 2 shown]
	.loc	1 69 26 is_stmt 1               ; attention_bwd.py:69:26 @[ attention_bwd.py:200:26 ]
	s_wait_storecnt 0x0
	s_wait_loadcnt_dscnt 0x0
	s_barrier_signal -1
	v_add3_u32 v0, s35, s33, v64
	v_dual_mov_b32 v96, 0 :: v_dual_add_nc_u32 v203, v201, v14
	v_dual_mov_b32 v64, 0 :: v_dual_mov_b32 v65, 0
	s_delay_alu instid0(VALU_DEP_3)
	v_dual_mov_b32 v67, 0 :: v_dual_add_nc_u32 v202, v0, v188
	v_dual_mov_b32 v66, 0 :: v_dual_mov_b32 v69, 0
	v_dual_mov_b32 v68, 0 :: v_dual_mov_b32 v71, 0
	;; [unrolled: 1-line block ×6, first 2 shown]
	v_mov_b32_e32 v78, 0
	.loc	1 52 24                         ; attention_bwd.py:52:24 @[ attention_bwd.py:200:26 ]
	s_and_b32 vcc_lo, exec_lo, s0
	.loc	1 69 26                         ; attention_bwd.py:69:26 @[ attention_bwd.py:200:26 ]
	s_barrier_wait -1
	global_inv scope:SCOPE_SE
	.loc	1 52 24                         ; attention_bwd.py:52:24 @[ attention_bwd.py:200:26 ]
	s_wait_alu depctr_sa_sdst(0)
	s_cbranch_vccnz .LBB0_140
; %bb.139:
	.loc	1 0 24 is_stmt 0                ; attention_bwd.py:0:24
	scratch_load_b128 v[0:3], off, off offset:940 th:TH_LOAD_LU ; 16-byte Folded Reload
	.loc	1 48 21 is_stmt 1               ; attention_bwd.py:48:21 @[ attention_bwd.py:200:26 ]
	ds_load_u16 v83, v203 offset:416
	ds_load_u16 v72, v203 offset:1024
	;; [unrolled: 1-line block ×8, first 2 shown]
	s_wait_dscnt 0x7
	ds_load_u16_d16_hi v83, v203 offset:480
	s_wait_dscnt 0x7
	ds_load_u16_d16_hi v72, v203 offset:1088
	ds_load_u16 v78, v203 offset:256
	ds_load_u16 v77, v203 offset:128
	ds_load_u16 v76, v203
	ds_load_u16 v73, v203 offset:1152
	ds_load_u16 v74, v203 offset:1280
	;; [unrolled: 1-line block ×10, first 2 shown]
	s_wait_dscnt 0x13
	ds_load_u16_d16_hi v79, v203 offset:448
	s_wait_dscnt 0xd
	ds_load_u16_d16_hi v78, v203 offset:320
	s_wait_dscnt 0xd
	ds_load_u16_d16_hi v77, v203 offset:192
	s_wait_dscnt 0xd
	ds_load_u16_d16_hi v76, v203 offset:64
	s_wait_dscnt 0xd
	ds_load_u16_d16_hi v73, v203 offset:1216
	ds_load_u16 v89, v203 offset:2176
	s_wait_dscnt 0xe
	ds_load_u16_d16_hi v74, v203 offset:1344
	s_wait_dscnt 0xe
	ds_load_u16_d16_hi v75, v203 offset:1472
	;; [unrolled: 2-line block ×3, first 2 shown]
	ds_load_u16_d16_hi v82, v203 offset:352
	s_wait_dscnt 0xf
	ds_load_u16_d16_hi v81, v203 offset:224
	s_wait_dscnt 0xf
	;; [unrolled: 2-line block ×4, first 2 shown]
	ds_load_u16_d16_hi v87, v203 offset:1504
	ds_load_u16 v92, v203 offset:2080
	s_wait_dscnt 0x10
	ds_load_u16_d16_hi v88, v203 offset:2112
	s_wait_dscnt 0x10
	ds_load_u16_d16_hi v86, v203 offset:1376
	.loc	1 52 24                         ; attention_bwd.py:52:24 @[ attention_bwd.py:200:26 ]
	s_wait_dscnt 0xd
	v_wmma_f32_16x16x16_f16 v[64:71], v[76:79], v[196:199], 0
	s_wait_loadcnt_dscnt 0x9
	s_delay_alu instid0(VALU_DEP_1)
	v_wmma_f32_16x16x16_f16 v[64:71], v[72:75], v[0:3], v[64:71]
	s_wait_dscnt 0x6
	v_wmma_f32_16x16x16_f16 v[72:79], v[80:83], v[196:199], 0
	.loc	1 48 21                         ; attention_bwd.py:48:21 @[ attention_bwd.py:200:26 ]
	ds_load_u16 v80, v203 offset:3072
	ds_load_u16 v95, v203 offset:2464
	;; [unrolled: 1-line block ×9, first 2 shown]
	ds_load_u16_d16_hi v100, v203 offset:3552
	ds_load_u16_d16_hi v101, v203 offset:4160
	ds_load_u16 v82, v203 offset:3328
	ds_load_u16 v98, v203 offset:3232
	ds_load_u16_d16_hi v91, v203 offset:2496
	ds_load_u16_d16_hi v94, v203 offset:2400
	.loc	1 52 24                         ; attention_bwd.py:52:24 @[ attention_bwd.py:200:26 ]
	s_wait_dscnt 0xf
	v_wmma_f32_16x16x16_f16 v[72:79], v[84:87], v[0:3], v[72:79]
	v_dual_mov_b32 v0, v103 :: v_dual_mov_b32 v1, v104
	v_mov_b32_e32 v2, v105
	.loc	1 48 21                         ; attention_bwd.py:48:21 @[ attention_bwd.py:200:26 ]
	ds_load_u16 v103, v203 offset:4352
	ds_load_u16 v85, v203 offset:4256
	;; [unrolled: 1-line block ×3, first 2 shown]
	s_wait_dscnt 0x11
	ds_load_u16_d16_hi v80, v203 offset:3136
	s_wait_dscnt 0x11
	ds_load_u16_d16_hi v95, v203 offset:2528
	;; [unrolled: 2-line block ×3, first 2 shown]
	ds_load_u16_d16_hi v89, v203 offset:2240
	s_wait_dscnt 0x12
	ds_load_u16_d16_hi v93, v203 offset:2272
	ds_load_u16_d16_hi v92, v203 offset:2144
	s_wait_dscnt 0x11
	ds_load_u16_d16_hi v81, v203 offset:3264
	s_wait_dscnt 0x11
	;; [unrolled: 2-line block ×4, first 2 shown]
	ds_load_u16_d16_hi v82, v203 offset:3392
	ds_load_u16 v86, v203 offset:4384
	ds_load_u16 v84, v203 offset:4128
	ds_load_u16_d16_hi v99, v203 offset:3424
	s_wait_dscnt 0x12
	ds_load_u16_d16_hi v98, v203 offset:3296
	.loc	1 52 24                         ; attention_bwd.py:52:24 @[ attention_bwd.py:200:26 ]
	s_wait_dscnt 0xa
	v_wmma_f32_16x16x16_f16 v[64:71], v[88:91], v[112:115], v[64:71]
	s_wait_dscnt 0x8
	v_wmma_f32_16x16x16_f16 v[72:79], v[92:95], v[112:115], v[72:79]
	.loc	1 48 21                         ; attention_bwd.py:48:21 @[ attention_bwd.py:200:26 ]
	ds_load_u16 v89, v203 offset:6272
	ds_load_u16 v90, v203 offset:6400
	;; [unrolled: 1-line block ×3, first 2 shown]
	.loc	1 52 24                         ; attention_bwd.py:52:24 @[ attention_bwd.py:200:26 ]
	s_wait_dscnt 0x7
	v_wmma_f32_16x16x16_f16 v[64:71], v[80:83], v[108:111], v[64:71]
	.loc	1 48 21                         ; attention_bwd.py:48:21 @[ attention_bwd.py:200:26 ]
	ds_load_u16 v83, v203 offset:6560
	ds_load_u16 v105, v203 offset:7168
	.loc	1 52 24                         ; attention_bwd.py:52:24 @[ attention_bwd.py:200:26 ]
	s_wait_dscnt 0x5
	v_wmma_f32_16x16x16_f16 v[72:79], v[97:100], v[108:111], v[72:79]
	.loc	1 48 21                         ; attention_bwd.py:48:21 @[ attention_bwd.py:200:26 ]
	ds_load_u16 v100, v203 offset:7584
	ds_load_u16 v88, v203 offset:6144
	;; [unrolled: 1-line block ×8, first 2 shown]
	s_wait_dscnt 0xa
	ds_load_u16_d16_hi v95, v203 offset:5600
	ds_load_u16 v114, v203 offset:5376
	ds_load_u16 v113, v203 offset:5248
	;; [unrolled: 1-line block ×11, first 2 shown]
	s_wait_dscnt 0x13
	ds_load_u16_d16_hi v100, v203 offset:7648
	ds_load_u16 v106, v203 offset:7296
	ds_load_u16_d16_hi v104, v203 offset:4544
	ds_load_u16_d16_hi v103, v203 offset:4416
	;; [unrolled: 1-line block ×6, first 2 shown]
	s_wait_dscnt 0x1a
	ds_load_u16_d16_hi v88, v203 offset:6208
	s_wait_dscnt 0x18
	ds_load_u16_d16_hi v112, v203 offset:5184
	;; [unrolled: 2-line block ×4, first 2 shown]
	ds_load_u16_d16_hi v92, v203 offset:5216
	ds_load_u16_d16_hi v115, v203 offset:5568
	;; [unrolled: 1-line block ×5, first 2 shown]
	s_wait_dscnt 0x17
	ds_load_u16_d16_hi v91, v203 offset:6592
	ds_load_u16_d16_hi v82, v203 offset:6496
	;; [unrolled: 1-line block ×6, first 2 shown]
	s_wait_dscnt 0x1c
	ds_load_u16_d16_hi v81, v203 offset:6368
	ds_load_u16_d16_hi v80, v203 offset:6240
	s_wait_dscnt 0x17
	ds_load_u16_d16_hi v106, v203 offset:7360
	ds_load_u16_d16_hi v97, v203 offset:7264
	;; [unrolled: 1-line block ×6, first 2 shown]
	.loc	1 52 24                         ; attention_bwd.py:52:24 @[ attention_bwd.py:200:26 ]
	s_wait_dscnt 0x1a
	v_wmma_f32_16x16x16_f16 v[64:71], v[101:104], v[217:220], v[64:71]
	s_wait_dscnt 0x14
	v_wmma_f32_16x16x16_f16 v[72:79], v[84:87], v[217:220], v[72:79]
	s_wait_dscnt 0xe
	s_delay_alu instid0(VALU_DEP_2) | instskip(NEXT) | instid1(VALU_DEP_2)
	v_wmma_f32_16x16x16_f16 v[64:71], v[112:115], v[157:160], v[64:71]
	v_wmma_f32_16x16x16_f16 v[72:79], v[92:95], v[157:160], v[72:79]
	s_wait_dscnt 0x8
	s_delay_alu instid0(VALU_DEP_2) | instskip(SKIP_1) | instid1(VALU_DEP_2)
	v_wmma_f32_16x16x16_f16 v[64:71], v[88:91], v[139:142], v[64:71]
	s_wait_dscnt 0x6
	v_wmma_f32_16x16x16_f16 v[72:79], v[80:83], v[139:142], v[72:79]
	s_wait_dscnt 0x1
	s_delay_alu instid0(VALU_DEP_2)
	v_wmma_f32_16x16x16_f16 v[64:71], v[105:108], v[131:134], v[64:71]
	v_dual_mov_b32 v105, v2 :: v_dual_mov_b32 v104, v1
	v_mov_b32_e32 v103, v0
	s_wait_dscnt 0x0
	v_wmma_f32_16x16x16_f16 v[72:79], v[97:100], v[131:134], v[72:79]
.LBB0_140:
	.loc	1 0 0 is_stmt 0                 ; attention_bwd.py:0 @[ attention_bwd.py:200:26 ]
	ds_load_b128 v[135:138], v202
	ds_load_b128 v[16:19], v202 offset:32
	ds_load_b128 v[32:35], v202 offset:2048
	.loc	1 53 32 is_stmt 1               ; attention_bwd.py:53:32 @[ attention_bwd.py:200:26 ]
	v_dual_sub_f32 v4, v76, v57 :: v_dual_sub_f32 v5, v77, v58
	v_dual_sub_f32 v6, v78, v59 :: v_dual_sub_f32 v7, v79, v60
	.loc	1 0 0 is_stmt 0                 ; attention_bwd.py:0 @[ attention_bwd.py:200:26 ]
	ds_load_b128 v[52:55], v202 offset:4128
	ds_load_b128 v[60:63], v202 offset:6144
	;; [unrolled: 1-line block ×3, first 2 shown]
	v_dual_mov_b32 v232, v39 :: v_dual_mov_b32 v231, v38
	.loc	1 53 32                         ; attention_bwd.py:53:32 @[ attention_bwd.py:200:26 ]
	v_dual_sub_f32 v15, v64, v165 :: v_dual_mov_b32 v230, v37
	v_dual_mov_b32 v229, v36 :: v_dual_sub_f32 v8, v65, v242
	v_sub_f32_e32 v9, v66, v243
	s_delay_alu instid0(VALU_DEP_4)
	v_dual_sub_f32 v2, v74, v231 :: v_dual_sub_f32 v3, v75, v232
	v_dual_sub_f32 v10, v67, v244 :: v_dual_sub_f32 v11, v68, v245
	v_mov_b32_e32 v74, v42
	.loc	1 53 26                         ; attention_bwd.py:53:26 @[ attention_bwd.py:200:26 ]
	v_exp_f32_e32 v112, v15
	.loc	1 53 32                         ; attention_bwd.py:53:32 @[ attention_bwd.py:200:26 ]
	v_dual_sub_f32 v0, v72, v229 :: v_dual_sub_f32 v1, v73, v230
	.loc	1 0 0                           ; attention_bwd.py:0 @[ attention_bwd.py:200:26 ]
	s_wait_dscnt 0x3
	scratch_store_b128 off, v[32:35], off offset:96 ; 16-byte Folded Spill
	ds_load_b128 v[48:51], v202 offset:2080
	ds_load_b128 v[32:35], v202 offset:4096
	.loc	1 53 32                         ; attention_bwd.py:53:32 @[ attention_bwd.py:200:26 ]
	v_dual_sub_f32 v12, v69, v103 :: v_dual_sub_f32 v13, v70, v104
	.loc	1 53 26                         ; attention_bwd.py:53:26 @[ attention_bwd.py:200:26 ]
	v_exp_f32_e32 v113, v8
	v_exp_f32_e32 v114, v9
	;; [unrolled: 1-line block ×3, first 2 shown]
	.loc	1 61 21 is_stmt 1               ; attention_bwd.py:61:21 @[ attention_bwd.py:200:26 ]
	v_cvt_f16_f32_e32 v8, v112
	.loc	1 53 26                         ; attention_bwd.py:53:26 @[ attention_bwd.py:200:26 ]
	v_exp_f32_e32 v116, v11
	v_exp_f32_e32 v117, v12
	v_exp_f32_e32 v120, v0
	v_exp_f32_e32 v121, v1
	v_exp_f32_e32 v122, v2
	v_exp_f32_e32 v123, v3
	.loc	1 61 21                         ; attention_bwd.py:61:21 @[ attention_bwd.py:200:26 ]
	v_cvt_f16_f32_e32 v15, v113
	.loc	1 53 26                         ; attention_bwd.py:53:26 @[ attention_bwd.py:200:26 ]
	v_exp_f32_e32 v124, v4
	.loc	1 61 21                         ; attention_bwd.py:61:21 @[ attention_bwd.py:200:26 ]
	v_cvt_f16_f32_e32 v9, v115
	.loc	1 53 32                         ; attention_bwd.py:53:32 @[ attention_bwd.py:200:26 ]
	v_dual_sub_f32 v14, v71, v105 :: v_dual_mov_b32 v73, v41
	.loc	1 53 26 is_stmt 0               ; attention_bwd.py:53:26 @[ attention_bwd.py:200:26 ]
	v_exp_f32_e32 v125, v5
	.loc	1 61 21 is_stmt 1               ; attention_bwd.py:61:21 @[ attention_bwd.py:200:26 ]
	v_cvt_f16_f32_e32 v0, v120
	.loc	1 0 0 is_stmt 0                 ; attention_bwd.py:0 @[ attention_bwd.py:200:26 ]
	s_wait_dscnt 0x0
	scratch_store_b128 off, v[32:35], off offset:352 ; 16-byte Folded Spill
	.loc	1 61 21                         ; attention_bwd.py:61:21 @[ attention_bwd.py:200:26 ]
	v_cvt_f16_f32_e32 v1, v121
	.loc	1 53 26 is_stmt 1               ; attention_bwd.py:53:26 @[ attention_bwd.py:200:26 ]
	v_exp_f32_e32 v118, v13
	v_exp_f32_e32 v126, v6
	;; [unrolled: 1-line block ×4, first 2 shown]
	v_dual_mov_b32 v72, v40 :: v_dual_mov_b32 v75, v43
	v_dual_mov_b32 v76, v44 :: v_dual_mov_b32 v77, v45
	;; [unrolled: 1-line block ×10, first 2 shown]
	v_mov_b32_e32 v111, 0
	.loc	1 66 24                         ; attention_bwd.py:66:24 @[ attention_bwd.py:200:26 ]
	s_and_b32 vcc_lo, exec_lo, s0
	s_wait_loadcnt 0x0
	s_wait_storecnt 0x0
	s_barrier_signal -1
	s_barrier_wait -1
	global_inv scope:SCOPE_SE
	.loc	1 61 21                         ; attention_bwd.py:61:21 @[ attention_bwd.py:200:26 ]
	ds_store_b16 v194, v8 offset:16384
	ds_store_b16 v194, v0 offset:18432
	;; [unrolled: 1-line block ×3, first 2 shown]
	v_cvt_f16_f32_e32 v8, v114
	ds_store_b16 v194, v15 offset:16512
	v_cvt_f16_f32_e32 v0, v122
	v_cvt_f16_f32_e32 v1, v123
	s_clause 0x1                            ; 32-byte Folded Reload
	scratch_load_b128 v[64:67], off, off offset:176
	scratch_load_b128 v[68:71], off, off offset:192
	ds_store_b16 v194, v8 offset:16640
	v_cvt_f16_f32_e32 v8, v116
	ds_store_b16 v194, v9 offset:16768
	v_cvt_f16_f32_e32 v9, v117
	;; [unrolled: 2-line block ×3, first 2 shown]
	ds_store_b16 v194, v8 offset:16896
	ds_store_b16 v194, v1 offset:18816
	;; [unrolled: 1-line block ×3, first 2 shown]
	v_cvt_f16_f32_e32 v1, v125
	v_cvt_f16_f32_e32 v8, v118
	ds_store_b16 v194, v0 offset:18944
	v_cvt_f16_f32_e32 v0, v126
	v_cvt_f16_f32_e32 v9, v119
	ds_store_b16 v194, v1 offset:19072
	v_cvt_f16_f32_e32 v1, v127
	ds_store_b16 v194, v8 offset:17152
	ds_store_b16 v194, v9 offset:17280
	;; [unrolled: 1-line block ×4, first 2 shown]
	s_clause 0x3                            ; 64-byte Folded Reload
	scratch_load_b128 v[8:11], off, off offset:208
	scratch_load_b128 v[12:15], off, off offset:224
	;; [unrolled: 1-line block ×4, first 2 shown]
	.loc	1 58 21                         ; attention_bwd.py:58:21 @[ attention_bwd.py:200:26 ]
	ds_load_u16 v173, v205 offset:8192
	ds_load_u16 v174, v205 offset:8448
	;; [unrolled: 1-line block ×64, first 2 shown]
	.loc	1 66 24                         ; attention_bwd.py:66:24 @[ attention_bwd.py:200:26 ]
	ds_load_b128 v[248:251], v204 offset:8192
	ds_load_b128 v[232:235], v204 offset:8224
	;; [unrolled: 1-line block ×16, first 2 shown]
	s_wait_loadcnt 0x3
	v_dual_mov_b32 v80, v8 :: v_dual_mov_b32 v81, v9
	v_dual_mov_b32 v82, v10 :: v_dual_mov_b32 v83, v11
	s_wait_loadcnt 0x2
	v_dual_mov_b32 v84, v12 :: v_dual_mov_b32 v85, v13
	v_dual_mov_b32 v86, v14 :: v_dual_mov_b32 v87, v15
	.loc	1 61 21                         ; attention_bwd.py:61:21 @[ attention_bwd.py:200:26 ]
	s_wait_loadcnt_dscnt 0x0
	s_barrier_signal -1
	s_barrier_wait -1
	global_inv scope:SCOPE_SE
	.loc	1 66 24                         ; attention_bwd.py:66:24 @[ attention_bwd.py:200:26 ]
	s_wait_alu depctr_sa_sdst(0)
	s_cbranch_vccnz .LBB0_142
; %bb.141:
	.loc	1 0 24 is_stmt 0                ; attention_bwd.py:0:24
	v_dual_mov_b32 v84, v184 :: v_dual_mov_b32 v187, v63
	v_dual_mov_b32 v186, v62 :: v_dual_mov_b32 v185, v61
	;; [unrolled: 1-line block ×8, first 2 shown]
	v_mov_b32_e32 v52, v48
	v_dual_mov_b32 v48, v135 :: v_dual_mov_b32 v51, v138
	v_mov_b32_e32 v94, v20
	v_dual_mov_b32 v20, v19 :: v_dual_mov_b32 v21, v6
	v_dual_mov_b32 v50, v137 :: v_dual_mov_b32 v19, v18
	;; [unrolled: 1-line block ×5, first 2 shown]
	scratch_load_b128 v[4:7], off, off offset:80 th:TH_LOAD_LU ; 16-byte Folded Reload
	v_mov_b32_e32 v204, v0
	v_dual_mov_b32 v92, v1 :: v_dual_mov_b32 v49, v136
	.loc	1 62 26 is_stmt 1               ; attention_bwd.py:62:26 @[ attention_bwd.py:200:26 ]
	s_clause 0x1                            ; 32-byte Folded Reload
	scratch_load_b128 v[64:67], off, off offset:176
	scratch_load_b128 v[68:71], off, off offset:192
	v_perm_b32 v75, v180, v179, 0x5040100
	v_perm_b32 v74, v178, v177, 0x5040100
	;; [unrolled: 1-line block ×14, first 2 shown]
	.loc	1 61 21                         ; attention_bwd.py:61:21 @[ attention_bwd.py:200:26 ]
	ds_load_u16 v142, v195 offset:19200
	ds_load_u16 v141, v195 offset:18944
	;; [unrolled: 1-line block ×3, first 2 shown]
	s_wait_dscnt 0x2
	ds_load_u16_d16_hi v142, v195 offset:19328
	s_wait_dscnt 0x2
	ds_load_u16_d16_hi v141, v195 offset:19072
	;; [unrolled: 2-line block ×3, first 2 shown]
	.loc	1 62 26                         ; attention_bwd.py:62:26 @[ attention_bwd.py:200:26 ]
	v_perm_b32 v159, v148, v151, 0x5040100
	v_perm_b32 v134, v200, v133, 0x5040100
	;; [unrolled: 1-line block ×6, first 2 shown]
	scratch_load_b128 v[135:138], off, off offset:876 th:TH_LOAD_LU ; 16-byte Folded Reload
	.loc	1 66 24                         ; attention_bwd.py:66:24 @[ attention_bwd.py:200:26 ]
	s_wait_loadcnt 0x3
	v_wmma_f32_16x16x16_f16 v[96:103], v[248:251], v[4:7], 0
	v_mov_b32_e32 v248, v2
	scratch_load_b128 v[0:3], off, off offset:64 th:TH_LOAD_LU ; 16-byte Folded Reload
	v_wmma_f32_16x16x16_f16 v[104:111], v[244:247], v[4:7], 0
	v_mov_b32_e32 v4, v139
	s_wait_loadcnt 0x0
	v_wmma_f32_16x16x16_f16 v[96:103], v[232:235], v[0:3], v[96:103]
	s_delay_alu instid0(VALU_DEP_3)
	v_wmma_f32_16x16x16_f16 v[104:111], v[240:243], v[0:3], v[104:111]
	scratch_load_b128 v[0:3], off, off offset:48 th:TH_LOAD_LU ; 16-byte Folded Reload
	s_wait_loadcnt 0x0
	v_wmma_f32_16x16x16_f16 v[96:103], v[224:227], v[0:3], v[96:103]
	v_wmma_f32_16x16x16_f16 v[104:111], v[236:239], v[0:3], v[104:111]
	scratch_load_b128 v[0:3], off, off offset:32 th:TH_LOAD_LU ; 16-byte Folded Reload
	s_wait_loadcnt 0x0
	v_wmma_f32_16x16x16_f16 v[96:103], v[216:219], v[0:3], v[96:103]
	v_wmma_f32_16x16x16_f16 v[104:111], v[228:231], v[0:3], v[104:111]
	scratch_load_b128 v[0:3], off, off offset:924 th:TH_LOAD_LU ; 16-byte Folded Reload
	v_wmma_f32_16x16x16_f16 v[96:103], v[208:211], v[135:138], v[96:103]
	v_wmma_f32_16x16x16_f16 v[104:111], v[220:223], v[135:138], v[104:111]
	.loc	1 61 21                         ; attention_bwd.py:61:21 @[ attention_bwd.py:200:26 ]
	ds_load_u16 v138, v195 offset:17152
	ds_load_u16 v139, v195 offset:18432
	;; [unrolled: 1-line block ×5, first 2 shown]
	s_wait_dscnt 0x4
	ds_load_u16_d16_hi v138, v195 offset:17280
	s_wait_dscnt 0x4
	ds_load_u16_d16_hi v139, v195 offset:18560
	;; [unrolled: 2-line block ×5, first 2 shown]
	.loc	1 62 26                         ; attention_bwd.py:62:26 @[ attention_bwd.py:200:26 ]
	s_wait_dscnt 0x0
	v_wmma_f32_16x16x16_f16 v[64:71], v[72:75], v[135:138], v[64:71]
	v_dual_mov_b32 v79, v47 :: v_dual_mov_b32 v78, v46
	v_dual_mov_b32 v77, v45 :: v_dual_mov_b32 v76, v44
	;; [unrolled: 1-line block ×4, first 2 shown]
	v_perm_b32 v157, v92, v93, 0x5040100
	v_perm_b32 v129, v36, v22, 0x5040100
	s_delay_alu instid0(VALU_DEP_3) | instskip(SKIP_4) | instid1(VALU_DEP_1)
	v_wmma_f32_16x16x16_f16 v[72:79], v[80:83], v[135:138], v[72:79]
	v_dual_mov_b32 v87, v15 :: v_dual_mov_b32 v86, v14
	v_dual_mov_b32 v85, v13 :: v_dual_mov_b32 v84, v12
	;; [unrolled: 1-line block ×4, first 2 shown]
	v_wmma_f32_16x16x16_f16 v[80:87], v[88:91], v[135:138], v[80:87]
	s_clause 0x1                            ; 32-byte Folded Reload
	scratch_load_b128 v[88:91], off, off offset:144
	scratch_load_b128 v[92:95], off, off offset:160
	.loc	1 66 24                         ; attention_bwd.py:66:24 @[ attention_bwd.py:200:26 ]
	s_wait_loadcnt 0x2
	v_wmma_f32_16x16x16_f16 v[96:103], v[168:171], v[0:3], v[96:103]
	v_wmma_f32_16x16x16_f16 v[104:111], v[212:215], v[0:3], v[104:111]
	scratch_load_b128 v[0:3], off, off offset:908 th:TH_LOAD_LU ; 16-byte Folded Reload
	.loc	1 62 26                         ; attention_bwd.py:62:26 @[ attention_bwd.py:200:26 ]
	s_wait_loadcnt 0x1
	v_wmma_f32_16x16x16_f16 v[88:95], v[156:159], v[135:138], v[88:95]
	v_perm_b32 v135, v172, v207, 0x5040100
	s_delay_alu instid0(VALU_DEP_1)
	v_wmma_f32_16x16x16_f16 v[64:71], v[132:135], v[139:142], v[64:71]
	v_perm_b32 v135, v206, v143, 0x5040100
	v_perm_b32 v134, v150, v130, 0x5040100
	;; [unrolled: 1-line block ×5, first 2 shown]
	s_delay_alu instid0(VALU_DEP_2) | instskip(NEXT) | instid1(VALU_DEP_2)
	v_wmma_f32_16x16x16_f16 v[72:79], v[132:135], v[139:142], v[72:79]
	v_wmma_f32_16x16x16_f16 v[80:87], v[128:131], v[139:142], v[80:87]
	v_perm_b32 v131, v152, v205, 0x5040100
	v_perm_b32 v130, v33, v35, 0x5040100
	;; [unrolled: 1-line block ×3, first 2 shown]
	v_mov_b32_e32 v138, v51
	v_perm_b32 v128, v181, v182, 0x5040100
	v_dual_mov_b32 v137, v50 :: v_dual_mov_b32 v136, v49
	v_dual_mov_b32 v135, v48 :: v_dual_mov_b32 v48, v52
	v_dual_mov_b32 v16, v17 :: v_dual_mov_b32 v51, v55
	v_dual_mov_b32 v49, v53 :: v_dual_mov_b32 v50, v54
	v_dual_mov_b32 v52, v56 :: v_dual_mov_b32 v17, v18
	v_dual_mov_b32 v18, v19 :: v_dual_mov_b32 v53, v57
	v_dual_mov_b32 v54, v58 :: v_dual_mov_b32 v55, v59
	v_dual_mov_b32 v56, v60 :: v_dual_mov_b32 v57, v61
	v_dual_mov_b32 v58, v62 :: v_dual_mov_b32 v59, v63
	v_dual_mov_b32 v60, v184 :: v_dual_mov_b32 v19, v20
	v_dual_mov_b32 v61, v185 :: v_dual_mov_b32 v62, v186
	v_mov_b32_e32 v63, v187
	v_wmma_f32_16x16x16_f16 v[88:95], v[128:131], v[139:142], v[88:95]
	.loc	1 66 24                         ; attention_bwd.py:66:24 @[ attention_bwd.py:200:26 ]
	s_wait_loadcnt 0x0
	v_wmma_f32_16x16x16_f16 v[96:103], v[196:199], v[0:3], v[96:103]
	v_wmma_f32_16x16x16_f16 v[104:111], v[164:167], v[0:3], v[104:111]
	scratch_load_b128 v[0:3], off, off offset:892 th:TH_LOAD_LU ; 16-byte Folded Reload
	s_wait_loadcnt 0x0
	v_wmma_f32_16x16x16_f16 v[96:103], v[144:147], v[0:3], v[96:103]
	v_wmma_f32_16x16x16_f16 v[104:111], v[160:163], v[0:3], v[104:111]
.LBB0_142:
	.loc	1 67 26                         ; attention_bwd.py:67:26 @[ attention_bwd.py:200:26 ]
	s_clause 0x4                            ; 64-byte Folded Reload
	scratch_load_b32 v0, off, off offset:336 th:TH_LOAD_LU
	scratch_load_b128 v[189:192], off, off offset:272 th:TH_LOAD_LU
	scratch_load_b96 v[5:7], off, off offset:288 th:TH_LOAD_LU
	scratch_load_b128 v[8:11], off, off offset:304 th:TH_LOAD_LU
	scratch_load_b128 v[12:15], off, off offset:320 th:TH_LOAD_LU
	.loc	1 69 26                         ; attention_bwd.py:69:26 @[ attention_bwd.py:200:26 ]
	v_writelane_b32 v254, s12, 10
	v_writelane_b32 v253, s2, 6
	s_and_b32 vcc_lo, exec_lo, s0
	v_writelane_b32 v254, s13, 11
	v_writelane_b32 v253, s3, 7
	;; [unrolled: 1-line block ×12, first 2 shown]
	.loc	1 67 26                         ; attention_bwd.py:67:26 @[ attention_bwd.py:200:26 ]
	s_wait_loadcnt 0x3
	v_dual_sub_f32 v0, v96, v0 :: v_dual_sub_f32 v1, v97, v189
	v_dual_sub_f32 v2, v98, v190 :: v_dual_sub_f32 v3, v99, v191
	s_wait_loadcnt 0x2
	v_dual_sub_f32 v4, v100, v192 :: v_dual_sub_f32 v5, v101, v5
	v_dual_sub_f32 v6, v102, v6 :: v_dual_sub_f32 v7, v103, v7
	;; [unrolled: 3-line block ×4, first 2 shown]
	.loc	1 68 21                         ; attention_bwd.py:68:21 @[ attention_bwd.py:200:26 ]
	v_fma_mixlo_f16 v0, v112, v0, 0
	v_fma_mixlo_f16 v1, v113, v1, 0
	;; [unrolled: 1-line block ×16, first 2 shown]
	s_barrier_signal -1
	s_barrier_wait -1
	global_inv scope:SCOPE_SE
	ds_store_b16 v194, v0 offset:16384
	ds_store_b16 v194, v1 offset:16512
	ds_store_b16 v194, v2 offset:16640
	ds_store_b16 v194, v3 offset:16768
	ds_store_b16 v194, v4 offset:16896
	ds_store_b16 v194, v5 offset:17024
	ds_store_b16 v194, v6 offset:17152
	ds_store_b16 v194, v7 offset:17280
	ds_store_b16 v194, v8 offset:18432
	ds_store_b16 v194, v9 offset:18560
	ds_store_b16 v194, v10 offset:18688
	ds_store_b16 v194, v11 offset:18816
	ds_store_b16 v194, v12 offset:18944
	ds_store_b16 v194, v13 offset:19072
	ds_store_b16 v194, v14 offset:19200
	ds_store_b16 v194, v15 offset:19328
	s_wait_loadcnt_dscnt 0x0
	s_barrier_signal -1
	s_barrier_wait -1
	global_inv scope:SCOPE_SE
	.loc	1 69 26                         ; attention_bwd.py:69:26 @[ attention_bwd.py:200:26 ]
	s_wait_alu depctr_sa_sdst(0)
	s_cbranch_vccnz .LBB0_144
; %bb.143:
	s_clause 0x8                            ; 136-byte Folded Reload
	scratch_load_b128 v[140:143], off, off offset:240 th:TH_LOAD_LU
	scratch_load_b128 v[144:147], off, off offset:256 th:TH_LOAD_LU
	scratch_load_b128 v[0:3], off, off th:TH_LOAD_LU
	scratch_load_b128 v[4:7], off, off offset:16 th:TH_LOAD_LU
	scratch_load_b128 v[12:15], off, off offset:96 th:TH_LOAD_LU
	;; [unrolled: 1-line block ×3, first 2 shown]
	scratch_load_b64 v[162:163], off, off offset:976
	scratch_load_b128 v[154:157], off, off offset:112 th:TH_LOAD_LU
	scratch_load_b128 v[158:161], off, off offset:128 th:TH_LOAD_LU
	.loc	1 68 21                         ; attention_bwd.py:68:21 @[ attention_bwd.py:200:26 ]
	ds_load_u16 v35, v195 offset:17152
	ds_load_u16 v36, v195 offset:18432
	;; [unrolled: 1-line block ×8, first 2 shown]
	s_wait_dscnt 0x7
	ds_load_u16_d16_hi v35, v195 offset:17280
	s_wait_dscnt 0x7
	ds_load_u16_d16_hi v36, v195 offset:18560
	;; [unrolled: 2-line block ×8, first 2 shown]
	.loc	1 69 26                         ; attention_bwd.py:69:26 @[ attention_bwd.py:200:26 ]
	s_wait_loadcnt_dscnt 0x703
	v_wmma_f32_16x16x16_f16 v[140:147], v[135:138], v[32:35], v[140:147]
	s_wait_loadcnt 0x4
	v_wmma_f32_16x16x16_f16 v[0:7], v[12:15], v[32:35], v[0:7]
	s_wait_loadcnt 0x3
	;; [unrolled: 2-line block ×3, first 2 shown]
	v_wmma_f32_16x16x16_f16 v[154:161], v[60:63], v[32:35], v[154:161]
	s_wait_dscnt 0x0
	v_wmma_f32_16x16x16_f16 v[140:147], v[16:19], v[36:39], v[140:147]
	v_wmma_f32_16x16x16_f16 v[0:7], v[48:51], v[36:39], v[0:7]
	;; [unrolled: 1-line block ×3, first 2 shown]
	s_clause 0x1                            ; 32-byte Folded Spill
	scratch_store_b128 off, v[0:3], off
	scratch_store_b128 off, v[4:7], off offset:16
	v_wmma_f32_16x16x16_f16 v[154:161], v[56:59], v[36:39], v[154:161]
	s_branch .LBB0_145
.Ltmp149:
.LBB0_144:
	.loc	1 0 26 is_stmt 0                ; attention_bwd.py:0:26
	s_clause 0xa                            ; 168-byte Folded Reload
	scratch_load_b128 v[80:83], off, off offset:208 th:TH_LOAD_LU
	scratch_load_b128 v[84:87], off, off offset:224 th:TH_LOAD_LU
	;; [unrolled: 1-line block ×4, first 2 shown]
	scratch_load_b64 v[162:163], off, off offset:976
	scratch_load_b128 v[140:143], off, off offset:240
	scratch_load_b128 v[144:147], off, off offset:256
	;; [unrolled: 1-line block ×4, first 2 shown]
	scratch_load_b128 v[64:67], off, off offset:176 th:TH_LOAD_LU
	scratch_load_b128 v[68:71], off, off offset:192 th:TH_LOAD_LU
	v_dual_mov_b32 v72, v40 :: v_dual_mov_b32 v73, v41
	v_dual_mov_b32 v74, v42 :: v_dual_mov_b32 v75, v43
	;; [unrolled: 1-line block ×4, first 2 shown]
.LBB0_145:
	s_clause 0x3                            ; 24-byte Folded Reload
	scratch_load_b32 v191, off, off offset:960
	scratch_load_b32 v0, off, off offset:964
	scratch_load_b64 v[2:3], off, off offset:1240 th:TH_LOAD_LU
	scratch_load_b64 v[4:5], off, off offset:1224 th:TH_LOAD_LU
	.loc	1 165 36 is_stmt 1              ; attention_bwd.py:165:36
	s_lshr_b32 s0, s101, 2
	s_clause 0x1                            ; 32-byte Folded Reload
	scratch_load_b128 v[14:17], off, off th:TH_LOAD_LU
	scratch_load_b128 v[18:21], off, off offset:16 th:TH_LOAD_LU
	.loc	1 205 22                        ; attention_bwd.py:205:22
	s_wait_loadcnt 0x7
	v_cvt_f16_f32_e32 v6, v67
	s_wait_loadcnt 0x6
	v_cvt_f16_f32_e32 v7, v68
	v_cvt_f16_f32_e32 v10, v69
	;; [unrolled: 1-line block ×7, first 2 shown]
	.loc	1 210 22                        ; attention_bwd.py:210:22
	v_fma_mixlo_f16 v88, s30, v142, 0
	.loc	1 205 22                        ; attention_bwd.py:205:22
	v_cvt_f16_f32_e32 v70, v80
	v_cvt_f16_f32_e32 v80, v90
	.loc	1 210 22                        ; attention_bwd.py:210:22
	v_fma_mixlo_f16 v90, s30, v144, 0
	.loc	1 205 22                        ; attention_bwd.py:205:22
	v_cvt_f16_f32_e32 v63, v73
	v_cvt_f16_f32_e32 v67, v77
	;; [unrolled: 1-line block ×3, first 2 shown]
	.loc	1 210 22                        ; attention_bwd.py:210:22
	v_fma_mixlo_f16 v87, s30, v141, 0
	.loc	1 205 22                        ; attention_bwd.py:205:22
	v_cvt_f16_f32_e32 v69, v79
	v_cvt_f16_f32_e32 v79, v89
	.loc	1 210 22                        ; attention_bwd.py:210:22
	v_fma_mixlo_f16 v89, s30, v143, 0
	.loc	1 205 22                        ; attention_bwd.py:205:22
	v_cvt_f16_f32_e32 v71, v81
	v_cvt_f16_f32_e32 v81, v91
	.loc	1 210 22                        ; attention_bwd.py:210:22
	v_fma_mixlo_f16 v91, s30, v145, 0
	.loc	1 205 22                        ; attention_bwd.py:205:22
	v_cvt_f16_f32_e32 v72, v82
	v_cvt_f16_f32_e32 v82, v92
	.loc	1 210 22                        ; attention_bwd.py:210:22
	v_fma_mixlo_f16 v92, s30, v146, 0
	v_fma_mixlo_f16 v146, s30, v24, 0
	.loc	1 205 22                        ; attention_bwd.py:205:22
	v_cvt_f16_f32_e32 v73, v83
	v_cvt_f16_f32_e32 v83, v93
	.loc	1 210 22                        ; attention_bwd.py:210:22
	v_fma_mixlo_f16 v93, s30, v147, 0
	v_fma_mixlo_f16 v147, s30, v25, 0
	;; [unrolled: 1-line block ×16, first 2 shown]
	.loc	1 220 20                        ; attention_bwd.py:220:20
	v_readlane_b32 s2, v254, 6
	v_readlane_b32 s3, v254, 7
	s_add_nc_u64 s[4:5], s[62:63], s[98:99]
	v_readlane_b32 s68, v253, 16
	v_readlane_b32 s69, v253, 17
	s_add_nc_u64 s[24:25], s[62:63], s[102:103]
	s_add_nc_u64 s[2:3], s[62:63], s[2:3]
	v_readlane_b32 s70, v253, 18
	v_readlane_b32 s71, v253, 19
	;; [unrolled: 1-line block ×40, first 2 shown]
	.loc	1 165 23                        ; attention_bwd.py:165:23
	s_wait_loadcnt 0x4
	s_wait_alu depctr_sa_sdst(0)
	v_or3_b32 v0, v0, s0, s34
	.loc	1 154 10                        ; attention_bwd.py:154:10
	s_add_nc_u64 s[0:1], s[90:91], s[20:21]
	v_readlane_b32 s90, v255, 4
	.loc	1 210 22                        ; attention_bwd.py:210:22
	s_wait_loadcnt 0x1
	v_fma_mixlo_f16 v141, s30, v17, 0
	s_wait_loadcnt 0x0
	v_fma_mixlo_f16 v142, s30, v18, 0
	.loc	1 171 38                        ; attention_bwd.py:171:38
	v_mul_lo_u32 v32, s22, v0
	.loc	1 210 22                        ; attention_bwd.py:210:22
	v_fma_mixlo_f16 v144, s30, v20, 0
	v_fma_mixlo_f16 v143, s30, v19, 0
	;; [unrolled: 1-line block ×3, first 2 shown]
	v_readlane_b32 s91, v255, 5
	.loc	1 204 19                        ; attention_bwd.py:204:19
	v_ashrrev_i32_e32 v33, 31, v32
	s_delay_alu instid0(VALU_DEP_1) | instskip(SKIP_1) | instid1(VALU_DEP_1)
	v_lshlrev_b64_e32 v[228:229], 1, v[32:33]
	s_wait_alu depctr_sa_sdst(0)
	v_add_co_u32 v32, vcc_lo, s0, v228
	s_wait_alu depctr_va_vcc(0)
	s_delay_alu instid0(VALU_DEP_2)
	v_add_co_ci_u32_e64 v33, null, s1, v229, vcc_lo
.Ltmp150:
	.loc	1 93 18                         ; attention_bwd.py:93:18 @[ attention_bwd.py:240:70 ]
	v_add_co_u32 v0, vcc_lo, s38, v2
	s_wait_alu depctr_va_vcc(0)
	v_add_co_ci_u32_e64 v1, null, s39, v3, vcc_lo
	.loc	1 94 18                         ; attention_bwd.py:94:18 @[ attention_bwd.py:240:70 ]
	v_add_co_u32 v2, vcc_lo, s36, v2
	s_wait_alu depctr_va_vcc(0)
	v_add_co_ci_u32_e64 v3, null, s37, v3, vcc_lo
	;; [unrolled: 4-line block ×4, first 2 shown]
	scratch_load_b64 v[4:5], off, off offset:1232 th:TH_LOAD_LU ; 8-byte Folded Reload
.Ltmp151:
	.loc	1 153 10                        ; attention_bwd.py:153:10
	s_add_nc_u64 s[0:1], s[88:89], s[20:21]
	v_readlane_b32 s88, v255, 2
	v_readlane_b32 s89, v255, 3
.Ltmp152:
	.loc	1 93 49                         ; attention_bwd.py:93:49 @[ attention_bwd.py:240:70 ]
	s_wait_loadcnt 0x0
	v_add_co_u32 v43, vcc_lo, v0, v4
	s_wait_alu depctr_va_vcc(0)
	v_add_co_ci_u32_e64 v44, null, v1, v5, vcc_lo
	.loc	1 94 49                         ; attention_bwd.py:94:49 @[ attention_bwd.py:240:70 ]
	v_add_co_u32 v41, vcc_lo, v2, v4
	s_wait_alu depctr_va_vcc(0)
	v_add_co_ci_u32_e64 v42, null, v3, v5, vcc_lo
	scratch_load_b64 v[4:5], off, off offset:1192 th:TH_LOAD_LU ; 8-byte Folded Reload
	.loc	1 93 49                         ; attention_bwd.py:93:49 @[ attention_bwd.py:240:70 ]
	s_wait_loadcnt 0x0
	v_add_co_u32 v47, vcc_lo, v0, v4
	s_wait_alu depctr_va_vcc(0)
	v_add_co_ci_u32_e64 v48, null, v1, v5, vcc_lo
	.loc	1 94 49                         ; attention_bwd.py:94:49 @[ attention_bwd.py:240:70 ]
	v_add_co_u32 v45, vcc_lo, v2, v4
	s_wait_alu depctr_va_vcc(0)
	v_add_co_ci_u32_e64 v46, null, v3, v5, vcc_lo
	scratch_load_b64 v[4:5], off, off offset:1200 th:TH_LOAD_LU ; 8-byte Folded Reload
	;; [unrolled: 10-line block ×6, first 2 shown]
	.loc	1 93 49                         ; attention_bwd.py:93:49 @[ attention_bwd.py:240:70 ]
	s_wait_loadcnt 0x0
	v_add_co_u32 v128, vcc_lo, v0, v4
.Ltmp153:
	.loc	1 171 58                        ; attention_bwd.py:171:58
	v_lshrrev_b32_e32 v0, 1, v191
.Ltmp154:
	.loc	1 93 49                         ; attention_bwd.py:93:49 @[ attention_bwd.py:240:70 ]
	s_wait_alu depctr_va_vcc(0)
	v_add_co_ci_u32_e64 v129, null, v1, v5, vcc_lo
	.loc	1 94 49                         ; attention_bwd.py:94:49 @[ attention_bwd.py:240:70 ]
	v_add_co_u32 v126, vcc_lo, v2, v4
	s_delay_alu instid0(VALU_DEP_3)
.Ltmp155:
	.loc	1 171 58                        ; attention_bwd.py:171:58
	v_and_b32_e32 v36, 24, v0
.Ltmp156:
	.loc	1 94 49                         ; attention_bwd.py:94:49 @[ attention_bwd.py:240:70 ]
	s_wait_alu depctr_va_vcc(0)
	v_add_co_ci_u32_e64 v127, null, v3, v5, vcc_lo
.Ltmp157:
	.loc	1 205 22                        ; attention_bwd.py:205:22
	v_cvt_f16_f32_e32 v4, v65
	v_cvt_f16_f32_e32 v5, v66
	.loc	1 171 58                        ; attention_bwd.py:171:58
	v_or_b32_e32 v0, 1, v36
	.loc	1 171 69 is_stmt 0              ; attention_bwd.py:171:69
	v_mul_lo_u32 v34, s23, v36
	.loc	1 171 58                        ; attention_bwd.py:171:58
	v_or_b32_e32 v2, 0x45, v36
	v_or_b32_e32 v8, 0x60, v36
	.loc	1 205 22 is_stmt 1              ; attention_bwd.py:205:22
	v_cvt_f16_f32_e32 v66, v76
	.loc	1 171 69                        ; attention_bwd.py:171:69
	v_mul_lo_u32 v55, s23, v0
	.loc	1 171 58 is_stmt 0              ; attention_bwd.py:171:58
	v_or_b32_e32 v0, 2, v36
	.loc	1 171 69                        ; attention_bwd.py:171:69
	v_mul_lo_u32 v2, s23, v2
	v_mul_lo_u32 v8, s23, v8
	.loc	1 204 50 is_stmt 1              ; attention_bwd.py:204:50
	v_ashrrev_i32_e32 v35, 31, v34
	.loc	1 205 22                        ; attention_bwd.py:205:22
	v_cvt_f16_f32_e32 v76, v86
	.loc	1 171 69                        ; attention_bwd.py:171:69
	v_mul_lo_u32 v57, s23, v0
	.loc	1 171 58 is_stmt 0              ; attention_bwd.py:171:58
	v_or_b32_e32 v0, 3, v36
	.loc	1 204 50 is_stmt 1              ; attention_bwd.py:204:50
	v_ashrrev_i32_e32 v56, 31, v55
	v_lshlrev_b64_e32 v[166:167], 1, v[34:35]
	v_ashrrev_i32_e32 v3, 31, v2
	.loc	1 210 22                        ; attention_bwd.py:210:22
	v_fma_mixlo_f16 v86, s30, v140, 0
	.loc	1 171 69                        ; attention_bwd.py:171:69
	v_mul_lo_u32 v59, s23, v0
	.loc	1 171 58 is_stmt 0              ; attention_bwd.py:171:58
	v_or_b32_e32 v0, 4, v36
	.loc	1 204 50 is_stmt 1              ; attention_bwd.py:204:50
	v_ashrrev_i32_e32 v58, 31, v57
	v_lshlrev_b64_e32 v[168:169], 1, v[55:56]
	v_add_co_u32 v34, vcc_lo, v32, v166
	s_delay_alu instid0(VALU_DEP_4)
	.loc	1 171 69                        ; attention_bwd.py:171:69
	v_mul_lo_u32 v61, s23, v0
	.loc	1 171 58 is_stmt 0              ; attention_bwd.py:171:58
	v_or_b32_e32 v0, 5, v36
	.loc	1 204 50 is_stmt 1              ; attention_bwd.py:204:50
	v_ashrrev_i32_e32 v60, 31, v59
	v_lshlrev_b64_e32 v[170:171], 1, v[57:58]
	s_wait_alu depctr_va_vcc(0)
	v_add_co_ci_u32_e64 v35, null, v33, v167, vcc_lo
	.loc	1 171 69                        ; attention_bwd.py:171:69
	v_mul_lo_u32 v96, s23, v0
	.loc	1 171 58 is_stmt 0              ; attention_bwd.py:171:58
	v_or_b32_e32 v0, 6, v36
	.loc	1 204 50 is_stmt 1              ; attention_bwd.py:204:50
	v_ashrrev_i32_e32 v62, 31, v61
	v_lshlrev_b64_e32 v[230:231], 1, v[59:60]
	v_add_co_u32 v55, vcc_lo, v32, v168
	s_delay_alu instid0(VALU_DEP_4)
	.loc	1 171 69                        ; attention_bwd.py:171:69
	v_mul_lo_u32 v98, s23, v0
	.loc	1 171 58 is_stmt 0              ; attention_bwd.py:171:58
	v_or_b32_e32 v0, 7, v36
	.loc	1 204 50 is_stmt 1              ; attention_bwd.py:204:50
	v_ashrrev_i32_e32 v97, 31, v96
	v_lshlrev_b64_e32 v[232:233], 1, v[61:62]
	s_wait_alu depctr_va_vcc(0)
	v_add_co_ci_u32_e64 v56, null, v33, v169, vcc_lo
	.loc	1 171 69                        ; attention_bwd.py:171:69
	v_mul_lo_u32 v100, s23, v0
	.loc	1 171 58 is_stmt 0              ; attention_bwd.py:171:58
	v_or_b32_e32 v0, 32, v36
	.loc	1 204 50 is_stmt 1              ; attention_bwd.py:204:50
	v_ashrrev_i32_e32 v99, 31, v98
	v_add_co_u32 v57, vcc_lo, v32, v170
	v_lshlrev_b64_e32 v[176:177], 1, v[96:97]
	s_delay_alu instid0(VALU_DEP_4)
	.loc	1 171 69                        ; attention_bwd.py:171:69
	v_mul_lo_u32 v102, s23, v0
	.loc	1 171 58 is_stmt 0              ; attention_bwd.py:171:58
	v_or_b32_e32 v0, 33, v36
	.loc	1 204 50 is_stmt 1              ; attention_bwd.py:204:50
	v_ashrrev_i32_e32 v101, 31, v100
	s_wait_alu depctr_va_vcc(0)
	v_add_co_ci_u32_e64 v58, null, v33, v171, vcc_lo
	v_add_co_u32 v59, vcc_lo, v32, v230
	.loc	1 171 69                        ; attention_bwd.py:171:69
	v_mul_lo_u32 v104, s23, v0
	.loc	1 171 58 is_stmt 0              ; attention_bwd.py:171:58
	v_or_b32_e32 v0, 34, v36
	.loc	1 204 50 is_stmt 1              ; attention_bwd.py:204:50
	v_ashrrev_i32_e32 v103, 31, v102
	v_lshlrev_b64_e32 v[178:179], 1, v[98:99]
	s_wait_alu depctr_va_vcc(0)
	v_add_co_ci_u32_e64 v60, null, v33, v231, vcc_lo
	.loc	1 171 69                        ; attention_bwd.py:171:69
	v_mul_lo_u32 v106, s23, v0
	.loc	1 171 58 is_stmt 0              ; attention_bwd.py:171:58
	v_or_b32_e32 v0, 35, v36
	.loc	1 204 50 is_stmt 1              ; attention_bwd.py:204:50
	v_ashrrev_i32_e32 v105, 31, v104
	v_add_co_u32 v61, vcc_lo, v32, v232
	v_lshlrev_b64_e32 v[180:181], 1, v[100:101]
	s_delay_alu instid0(VALU_DEP_4)
	.loc	1 171 69                        ; attention_bwd.py:171:69
	v_mul_lo_u32 v108, s23, v0
	.loc	1 171 58 is_stmt 0              ; attention_bwd.py:171:58
	v_or_b32_e32 v0, 36, v36
	.loc	1 204 50 is_stmt 1              ; attention_bwd.py:204:50
	v_ashrrev_i32_e32 v107, 31, v106
	s_wait_alu depctr_va_vcc(0)
	v_add_co_ci_u32_e64 v62, null, v33, v233, vcc_lo
	v_add_co_u32 v96, vcc_lo, v32, v176
	.loc	1 171 69                        ; attention_bwd.py:171:69
	v_mul_lo_u32 v110, s23, v0
	.loc	1 171 58 is_stmt 0              ; attention_bwd.py:171:58
	v_or_b32_e32 v0, 37, v36
	.loc	1 204 50 is_stmt 1              ; attention_bwd.py:204:50
	v_lshlrev_b64_e32 v[182:183], 1, v[102:103]
	v_ashrrev_i32_e32 v109, 31, v108
	s_wait_alu depctr_va_vcc(0)
	v_add_co_ci_u32_e64 v97, null, v33, v177, vcc_lo
	.loc	1 171 69                        ; attention_bwd.py:171:69
	v_mul_lo_u32 v112, s23, v0
	.loc	1 171 58 is_stmt 0              ; attention_bwd.py:171:58
	v_or_b32_e32 v0, 38, v36
	.loc	1 204 50 is_stmt 1              ; attention_bwd.py:204:50
	v_add_co_u32 v98, vcc_lo, v32, v178
	v_lshlrev_b64_e32 v[184:185], 1, v[104:105]
	v_ashrrev_i32_e32 v111, 31, v110
	s_delay_alu instid0(VALU_DEP_4) | instskip(SKIP_4) | instid1(VALU_DEP_3)
	.loc	1 171 69                        ; attention_bwd.py:171:69
	v_mul_lo_u32 v114, s23, v0
	.loc	1 171 58 is_stmt 0              ; attention_bwd.py:171:58
	v_or_b32_e32 v0, 39, v36
	.loc	1 204 50 is_stmt 1              ; attention_bwd.py:204:50
	s_wait_alu depctr_va_vcc(0)
	v_add_co_ci_u32_e64 v99, null, v33, v179, vcc_lo
	v_add_co_u32 v100, vcc_lo, v32, v180
	.loc	1 171 69                        ; attention_bwd.py:171:69
	v_mul_lo_u32 v130, s23, v0
	.loc	1 171 58 is_stmt 0              ; attention_bwd.py:171:58
	v_or_b32_e32 v0, 64, v36
	.loc	1 204 50 is_stmt 1              ; attention_bwd.py:204:50
	v_lshlrev_b64_e32 v[186:187], 1, v[106:107]
	v_ashrrev_i32_e32 v113, 31, v112
	s_wait_alu depctr_va_vcc(0)
	v_add_co_ci_u32_e64 v101, null, v33, v181, vcc_lo
	.loc	1 171 69                        ; attention_bwd.py:171:69
	v_mul_lo_u32 v132, s23, v0
	.loc	1 171 58 is_stmt 0              ; attention_bwd.py:171:58
	v_or_b32_e32 v0, 0x41, v36
	.loc	1 204 50 is_stmt 1              ; attention_bwd.py:204:50
	v_add_co_u32 v102, vcc_lo, v32, v182
	v_lshlrev_b64_e32 v[196:197], 1, v[108:109]
	v_ashrrev_i32_e32 v115, 31, v114
	s_delay_alu instid0(VALU_DEP_4) | instskip(SKIP_4) | instid1(VALU_DEP_3)
	.loc	1 171 69                        ; attention_bwd.py:171:69
	v_mul_lo_u32 v134, s23, v0
	.loc	1 171 58 is_stmt 0              ; attention_bwd.py:171:58
	v_or_b32_e32 v0, 0x42, v36
	.loc	1 204 50 is_stmt 1              ; attention_bwd.py:204:50
	s_wait_alu depctr_va_vcc(0)
	v_add_co_ci_u32_e64 v103, null, v33, v183, vcc_lo
	v_add_co_u32 v104, vcc_lo, v32, v184
	.loc	1 171 69                        ; attention_bwd.py:171:69
	v_mul_lo_u32 v136, s23, v0
	.loc	1 171 58 is_stmt 0              ; attention_bwd.py:171:58
	v_or_b32_e32 v0, 0x43, v36
	.loc	1 204 50 is_stmt 1              ; attention_bwd.py:204:50
	v_lshlrev_b64_e32 v[198:199], 1, v[110:111]
	v_ashrrev_i32_e32 v131, 31, v130
	s_wait_alu depctr_va_vcc(0)
	v_add_co_ci_u32_e64 v105, null, v33, v185, vcc_lo
	.loc	1 171 69                        ; attention_bwd.py:171:69
	v_mul_lo_u32 v138, s23, v0
	.loc	1 205 22                        ; attention_bwd.py:205:22
	v_cvt_f16_f32_e32 v0, v64
	.loc	1 204 50                        ; attention_bwd.py:204:50
	v_add_co_u32 v106, vcc_lo, v32, v186
	v_lshlrev_b64_e32 v[206:207], 1, v[112:113]
	v_ashrrev_i32_e32 v133, 31, v132
	.loc	1 205 22                        ; attention_bwd.py:205:22
	global_store_b16 v[34:35], v0, off
	.loc	1 171 58                        ; attention_bwd.py:171:58
	v_or_b32_e32 v0, 0x44, v36
	.loc	1 205 22                        ; attention_bwd.py:205:22
	s_clause 0x1
	global_store_b16 v[55:56], v4, off
	global_store_b16 v[57:58], v5, off
	.loc	1 171 58                        ; attention_bwd.py:171:58
	v_or_b32_e32 v4, 0x46, v36
	.loc	1 204 50                        ; attention_bwd.py:204:50
	s_wait_alu depctr_va_vcc(0)
	v_add_co_ci_u32_e64 v107, null, v33, v187, vcc_lo
	.loc	1 171 69                        ; attention_bwd.py:171:69
	v_mul_lo_u32 v0, s23, v0
	.loc	1 204 50                        ; attention_bwd.py:204:50
	v_add_co_u32 v108, vcc_lo, v32, v196
	v_lshlrev_b64_e32 v[208:209], 1, v[114:115]
	.loc	1 205 22                        ; attention_bwd.py:205:22
	s_clause 0x1
	global_store_b16 v[59:60], v6, off
	global_store_b16 v[61:62], v7, off
	.loc	1 171 58                        ; attention_bwd.py:171:58
	v_or_b32_e32 v6, 0x47, v36
	.loc	1 204 50                        ; attention_bwd.py:204:50
	v_ashrrev_i32_e32 v135, 31, v134
	s_wait_alu depctr_va_vcc(0)
	v_add_co_ci_u32_e64 v109, null, v33, v197, vcc_lo
	v_add_co_u32 v110, vcc_lo, v32, v198
	v_lshlrev_b64_e32 v[210:211], 1, v[130:131]
	v_ashrrev_i32_e32 v137, 31, v136
	.loc	1 171 69                        ; attention_bwd.py:171:69
	v_mul_lo_u32 v4, s23, v4
	.loc	1 204 50                        ; attention_bwd.py:204:50
	s_wait_alu depctr_va_vcc(0)
	v_add_co_ci_u32_e64 v111, null, v33, v199, vcc_lo
	v_add_co_u32 v112, vcc_lo, v32, v206
	v_lshlrev_b64_e32 v[212:213], 1, v[132:133]
	.loc	1 205 22                        ; attention_bwd.py:205:22
	s_clause 0x1
	global_store_b16 v[96:97], v10, off
	global_store_b16 v[98:99], v11, off
	.loc	1 171 58                        ; attention_bwd.py:171:58
	v_or_b32_e32 v10, 0x61, v36
	.loc	1 204 50                        ; attention_bwd.py:204:50
	v_ashrrev_i32_e32 v139, 31, v138
	.loc	1 171 69                        ; attention_bwd.py:171:69
	v_mul_lo_u32 v6, s23, v6
	.loc	1 204 50                        ; attention_bwd.py:204:50
	s_wait_alu depctr_va_vcc(0)
	v_add_co_ci_u32_e64 v113, null, v33, v207, vcc_lo
	v_add_co_u32 v114, vcc_lo, v32, v208
	v_lshlrev_b64_e32 v[214:215], 1, v[134:135]
	.loc	1 205 22                        ; attention_bwd.py:205:22
	s_clause 0x1
	global_store_b16 v[100:101], v12, off
	global_store_b16 v[102:103], v13, off
	.loc	1 171 58                        ; attention_bwd.py:171:58
	v_or_b32_e32 v12, 0x62, v36
	.loc	1 204 50                        ; attention_bwd.py:204:50
	v_ashrrev_i32_e32 v1, 31, v0
	s_wait_alu depctr_va_vcc(0)
	v_add_co_ci_u32_e64 v115, null, v33, v209, vcc_lo
	v_add_co_u32 v130, vcc_lo, v32, v210
	v_lshlrev_b64_e32 v[216:217], 1, v[136:137]
	.loc	1 205 22                        ; attention_bwd.py:205:22
	v_cvt_f16_f32_e32 v64, v74
	v_cvt_f16_f32_e32 v74, v84
	v_cvt_f16_f32_e32 v84, v94
	.loc	1 210 22                        ; attention_bwd.py:210:22
	v_fma_mixlo_f16 v94, s30, v14, 0
	.loc	1 171 58                        ; attention_bwd.py:171:58
	v_or_b32_e32 v14, 0x63, v36
	.loc	1 171 69 is_stmt 0              ; attention_bwd.py:171:69
	v_mul_lo_u32 v10, s23, v10
	.loc	1 204 50 is_stmt 1              ; attention_bwd.py:204:50
	s_wait_alu depctr_va_vcc(0)
	v_add_co_ci_u32_e64 v131, null, v33, v211, vcc_lo
	v_add_co_u32 v132, vcc_lo, v32, v212
	v_lshlrev_b64_e32 v[218:219], 1, v[138:139]
	.loc	1 210 22                        ; attention_bwd.py:210:22
	v_fma_mixlo_f16 v140, s30, v16, 0
	.loc	1 171 58                        ; attention_bwd.py:171:58
	v_or_b32_e32 v16, 0x64, v36
	.loc	1 204 50                        ; attention_bwd.py:204:50
	v_ashrrev_i32_e32 v5, 31, v4
	.loc	1 171 69                        ; attention_bwd.py:171:69
	v_mul_lo_u32 v12, s23, v12
	.loc	1 204 50                        ; attention_bwd.py:204:50
	s_wait_alu depctr_va_vcc(0)
	v_add_co_ci_u32_e64 v133, null, v33, v213, vcc_lo
	v_add_co_u32 v134, vcc_lo, v32, v214
	v_lshlrev_b64_e32 v[220:221], 1, v[0:1]
	.loc	1 171 58                        ; attention_bwd.py:171:58
	v_or_b32_e32 v18, 0x65, v36
	.loc	1 204 50                        ; attention_bwd.py:204:50
	v_ashrrev_i32_e32 v7, 31, v6
	.loc	1 171 69                        ; attention_bwd.py:171:69
	v_mul_lo_u32 v14, s23, v14
	.loc	1 204 50                        ; attention_bwd.py:204:50
	s_wait_alu depctr_va_vcc(0)
	v_add_co_ci_u32_e64 v135, null, v33, v215, vcc_lo
	v_add_co_u32 v136, vcc_lo, v32, v216
	v_lshlrev_b64_e32 v[188:189], 1, v[2:3]
	;; [unrolled: 11-line block ×4, first 2 shown]
	v_ashrrev_i32_e32 v13, 31, v12
	.loc	1 171 69                        ; attention_bwd.py:171:69
	v_mul_lo_u32 v20, s23, v20
	.loc	1 204 50                        ; attention_bwd.py:204:50
	s_wait_alu depctr_va_vcc(0)
	v_add_co_ci_u32_e64 v1, null, v33, v221, vcc_lo
	v_add_co_u32 v2, vcc_lo, v32, v188
	v_lshlrev_b64_e32 v[224:225], 1, v[8:9]
	.loc	1 205 22                        ; attention_bwd.py:205:22
	v_cvt_f16_f32_e32 v65, v75
	v_cvt_f16_f32_e32 v75, v85
	;; [unrolled: 1-line block ×3, first 2 shown]
	.loc	1 210 22                        ; attention_bwd.py:210:22
	v_fma_mixlo_f16 v95, s30, v15, 0
	.loc	1 204 50                        ; attention_bwd.py:204:50
	v_ashrrev_i32_e32 v15, 31, v14
	.loc	1 171 69                        ; attention_bwd.py:171:69
	v_mul_lo_u32 v22, s23, v22
	.loc	1 204 50                        ; attention_bwd.py:204:50
	s_wait_alu depctr_va_vcc(0)
	v_add_co_ci_u32_e64 v3, null, v33, v189, vcc_lo
	v_add_co_u32 v4, vcc_lo, v32, v222
	v_lshlrev_b64_e32 v[97:98], 1, v[10:11]
	v_ashrrev_i32_e32 v17, 31, v16
	s_wait_alu depctr_va_vcc(0)
	v_add_co_ci_u32_e64 v5, null, v33, v223, vcc_lo
	v_add_co_u32 v6, vcc_lo, v32, v226
	v_lshlrev_b64_e32 v[101:102], 1, v[12:13]
	v_ashrrev_i32_e32 v19, 31, v18
	;; [unrolled: 5-line block ×3, first 2 shown]
	s_wait_alu depctr_va_vcc(0)
	v_add_co_ci_u32_e64 v9, null, v33, v225, vcc_lo
	v_add_co_u32 v10, vcc_lo, v32, v97
	.loc	1 205 22                        ; attention_bwd.py:205:22
	s_clause 0x1
	global_store_b16 v[104:105], v63, off
	global_store_b16 v[106:107], v64, off
	.loc	1 204 50                        ; attention_bwd.py:204:50
	v_lshlrev_b64_e32 v[103:104], 1, v[16:17]
	v_ashrrev_i32_e32 v23, 31, v22
	s_wait_alu depctr_va_vcc(0)
	v_add_co_ci_u32_e64 v11, null, v33, v98, vcc_lo
	v_add_co_u32 v12, vcc_lo, v32, v101
	v_lshlrev_b64_e32 v[105:106], 1, v[18:19]
	s_wait_alu depctr_va_vcc(0)
	v_add_co_ci_u32_e64 v13, null, v33, v102, vcc_lo
	v_add_co_u32 v14, vcc_lo, v32, v99
	v_lshlrev_b64_e32 v[204:205], 1, v[20:21]
	s_wait_alu depctr_va_vcc(0)
	v_add_co_ci_u32_e64 v15, null, v33, v100, vcc_lo
	v_add_co_u32 v16, vcc_lo, v32, v103
	.loc	1 205 22                        ; attention_bwd.py:205:22
	global_store_b16 v[108:109], v65, off
	.loc	1 204 50                        ; attention_bwd.py:204:50
	v_lshlrev_b64_e32 v[107:108], 1, v[22:23]
	s_wait_alu depctr_va_vcc(0)
	v_add_co_ci_u32_e64 v17, null, v33, v104, vcc_lo
	v_add_co_u32 v18, vcc_lo, v32, v105
	s_wait_alu depctr_va_vcc(0)
	v_add_co_ci_u32_e64 v19, null, v33, v106, vcc_lo
	v_add_co_u32 v20, vcc_lo, v32, v204
	;; [unrolled: 3-line block ×3, first 2 shown]
	s_wait_alu depctr_va_vcc(0)
	v_add_co_ci_u32_e64 v23, null, v33, v108, vcc_lo
	.loc	1 209 19                        ; attention_bwd.py:209:19
	s_wait_alu depctr_sa_sdst(0)
	v_add_co_u32 v36, vcc_lo, s0, v228
	s_wait_alu depctr_va_vcc(0)
	v_add_co_ci_u32_e64 v96, null, s1, v229, vcc_lo
	.loc	1 205 22                        ; attention_bwd.py:205:22
	s_clause 0x1
	global_store_b16 v[110:111], v66, off
	global_store_b16 v[112:113], v67, off
	.loc	1 209 50                        ; attention_bwd.py:209:50
	v_add_co_u32 v24, vcc_lo, v36, v166
	s_wait_alu depctr_va_vcc(0)
	v_add_co_ci_u32_e64 v25, null, v96, v167, vcc_lo
	v_add_co_u32 v26, vcc_lo, v36, v168
	s_wait_alu depctr_va_vcc(0)
	v_add_co_ci_u32_e64 v27, null, v96, v169, vcc_lo
	;; [unrolled: 3-line block ×8, first 2 shown]
	v_add_co_u32 v59, vcc_lo, v36, v182
	.loc	1 205 22                        ; attention_bwd.py:205:22
	s_clause 0x5
	global_store_b16 v[114:115], v68, off
	global_store_b16 v[130:131], v69, off
	;; [unrolled: 1-line block ×6, first 2 shown]
	.loc	1 209 50                        ; attention_bwd.py:209:50
	s_wait_alu depctr_va_vcc(0)
	v_add_co_ci_u32_e64 v60, null, v96, v183, vcc_lo
	.loc	1 205 22                        ; attention_bwd.py:205:22
	global_store_b16 v[0:1], v74, off
	.loc	1 209 50                        ; attention_bwd.py:209:50
	v_add_co_u32 v0, vcc_lo, v36, v184
	s_wait_alu depctr_va_vcc(0)
	v_add_co_ci_u32_e64 v1, null, v96, v185, vcc_lo
	.loc	1 205 22                        ; attention_bwd.py:205:22
	global_store_b16 v[2:3], v75, off
	.loc	1 209 50                        ; attention_bwd.py:209:50
	v_add_co_u32 v2, vcc_lo, v36, v186
	s_wait_alu depctr_va_vcc(0)
	v_add_co_ci_u32_e64 v3, null, v96, v187, vcc_lo
	v_add_co_u32 v61, vcc_lo, v36, v196
	s_wait_alu depctr_va_vcc(0)
	v_add_co_ci_u32_e64 v62, null, v96, v197, vcc_lo
	.loc	1 205 22                        ; attention_bwd.py:205:22
	global_store_b16 v[4:5], v76, off
	.loc	1 209 50                        ; attention_bwd.py:209:50
	v_add_co_u32 v4, vcc_lo, v36, v198
	s_wait_alu depctr_va_vcc(0)
	v_add_co_ci_u32_e64 v5, null, v96, v199, vcc_lo
	.loc	1 205 22                        ; attention_bwd.py:205:22
	global_store_b16 v[6:7], v77, off
	.loc	1 209 50                        ; attention_bwd.py:209:50
	v_add_co_u32 v6, vcc_lo, v36, v206
	s_wait_alu depctr_va_vcc(0)
	v_add_co_ci_u32_e64 v7, null, v96, v207, vcc_lo
	v_add_co_u32 v63, vcc_lo, v36, v208
	;; [unrolled: 15-line block ×6, first 2 shown]
	s_wait_alu depctr_va_vcc(0)
	v_add_co_ci_u32_e64 v72, null, v96, v102, vcc_lo
	.loc	1 210 22                        ; attention_bwd.py:210:22
	global_store_b16 v[24:25], v86, off
	.loc	1 209 50                        ; attention_bwd.py:209:50
	v_add_co_u32 v24, vcc_lo, v36, v99
	s_wait_alu depctr_va_vcc(0)
	v_add_co_ci_u32_e64 v25, null, v96, v100, vcc_lo
	.loc	1 210 22                        ; attention_bwd.py:210:22
	global_store_b16 v[26:27], v87, off
	.loc	1 209 50                        ; attention_bwd.py:209:50
	v_add_co_u32 v26, vcc_lo, v36, v103
	.loc	1 220 20                        ; attention_bwd.py:220:20
	v_readlane_b32 s0, v254, 8
	v_readlane_b32 s1, v254, 9
	.loc	1 209 50                        ; attention_bwd.py:209:50
	s_wait_alu depctr_va_vcc(0)
	v_add_co_ci_u32_e64 v27, null, v96, v104, vcc_lo
	v_add_co_u32 v73, vcc_lo, v36, v105
	s_wait_alu depctr_va_vcc(0)
	v_add_co_ci_u32_e64 v74, null, v96, v106, vcc_lo
	.loc	1 210 22                        ; attention_bwd.py:210:22
	global_store_b16 v[28:29], v88, off
	.loc	1 209 50                        ; attention_bwd.py:209:50
	v_add_co_u32 v28, vcc_lo, v36, v204
	s_wait_alu depctr_va_vcc(0)
	v_add_co_ci_u32_e64 v29, null, v96, v205, vcc_lo
	v_add_co_u32 v75, vcc_lo, v36, v107
	.loc	1 220 20                        ; attention_bwd.py:220:20
	s_add_nc_u64 s[0:1], s[62:63], s[0:1]
	.loc	1 209 50                        ; attention_bwd.py:209:50
	s_wait_alu depctr_va_vcc(0)
	v_add_co_ci_u32_e64 v76, null, v96, v108, vcc_lo
	.loc	1 210 22                        ; attention_bwd.py:210:22
	global_store_b16 v[30:31], v89, off
	.loc	1 220 51                        ; attention_bwd.py:220:51
	s_wait_alu depctr_sa_sdst(0)
	v_add_co_u32 v30, vcc_lo, s0, v162
	s_wait_alu depctr_va_vcc(0)
	v_add_co_ci_u32_e64 v31, null, s1, v163, vcc_lo
	.loc	1 220 20 is_stmt 0              ; attention_bwd.py:220:20
	v_readlane_b32 s0, v255, 30
	v_readlane_b32 s1, v255, 31
	s_clause 0x3                            ; 32-byte Folded Spill
	scratch_store_b64 off, v[208:209], off offset:480
	scratch_store_b64 off, v[210:211], off offset:488
	scratch_store_b64 off, v[212:213], off offset:496
	scratch_store_b64 off, v[214:215], off offset:504
	s_add_nc_u64 s[0:1], s[62:63], s[0:1]
	s_clause 0xb                            ; 96-byte Folded Spill
	scratch_store_b64 off, v[216:217], off offset:512
	scratch_store_b64 off, v[218:219], off offset:520
	;; [unrolled: 1-line block ×12, first 2 shown]
	.loc	1 210 22 is_stmt 1              ; attention_bwd.py:210:22
	s_clause 0x1b
	global_store_b16 v[32:33], v90, off
	global_store_b16 v[34:35], v91, off
	;; [unrolled: 1-line block ×28, first 2 shown]
	.loc	1 220 51                        ; attention_bwd.py:220:51
	s_wait_alu depctr_sa_sdst(0)
	v_add_co_u32 v0, vcc_lo, s0, v162
	s_wait_alu depctr_va_vcc(0)
	v_add_co_ci_u32_e64 v1, null, s1, v163, vcc_lo
	.loc	1 220 20 is_stmt 0              ; attention_bwd.py:220:20
	v_readlane_b32 s0, v254, 0
	v_readlane_b32 s1, v254, 1
	s_add_nc_u64 s[30:31], s[62:63], s[46:47]
	s_clause 0x1                            ; 12-byte Folded Reload
	scratch_load_b64 v[152:153], off, off offset:1248 th:TH_LOAD_LU
	scratch_load_b32 v36, off, off offset:1128 th:TH_LOAD_LU
	s_add_nc_u64 s[0:1], s[62:63], s[0:1]
	.loc	1 220 51                        ; attention_bwd.py:220:51
	s_wait_alu depctr_sa_sdst(0)
	v_add_co_u32 v2, vcc_lo, s0, v162
	s_wait_alu depctr_va_vcc(0)
	v_add_co_ci_u32_e64 v3, null, s1, v163, vcc_lo
	.loc	1 220 20                        ; attention_bwd.py:220:20
	v_readlane_b32 s0, v254, 2
	v_readlane_b32 s1, v254, 3
	s_add_nc_u64 s[0:1], s[62:63], s[0:1]
	.loc	1 220 51                        ; attention_bwd.py:220:51
	s_wait_alu depctr_sa_sdst(0)
	v_add_co_u32 v4, vcc_lo, s0, v162
	s_wait_alu depctr_va_vcc(0)
	v_add_co_ci_u32_e64 v5, null, s1, v163, vcc_lo
	.loc	1 220 20                        ; attention_bwd.py:220:20
	v_readlane_b32 s0, v254, 4
	v_readlane_b32 s1, v254, 5
	s_add_nc_u64 s[0:1], s[62:63], s[0:1]
	.loc	1 220 51                        ; attention_bwd.py:220:51
	s_wait_alu depctr_sa_sdst(0)
	v_add_co_u32 v6, vcc_lo, s0, v162
	s_wait_alu depctr_va_vcc(0)
	v_add_co_ci_u32_e64 v7, null, s1, v163, vcc_lo
	v_add_co_u32 v8, vcc_lo, s2, v162
	s_wait_alu depctr_va_vcc(0)
	v_add_co_ci_u32_e64 v9, null, s3, v163, vcc_lo
	v_add_co_u32 v10, vcc_lo, s4, v162
	.loc	1 220 20                        ; attention_bwd.py:220:20
	s_add_nc_u64 s[0:1], s[62:63], s[82:83]
	.loc	1 220 51                        ; attention_bwd.py:220:51
	s_wait_alu depctr_va_vcc(0)
	v_add_co_ci_u32_e64 v11, null, s5, v163, vcc_lo
	v_add_co_u32 v12, vcc_lo, s24, v162
	.loc	1 220 20                        ; attention_bwd.py:220:20
	s_add_nc_u64 s[2:3], s[62:63], s[68:69]
	.loc	1 220 51                        ; attention_bwd.py:220:51
	s_wait_alu depctr_va_vcc(0)
	v_add_co_ci_u32_e64 v13, null, s25, v163, vcc_lo
	s_wait_alu depctr_sa_sdst(0)
	v_add_co_u32 v14, vcc_lo, s0, v162
	.loc	1 220 20                        ; attention_bwd.py:220:20
	s_add_nc_u64 s[4:5], s[62:63], s[70:71]
	.loc	1 220 51                        ; attention_bwd.py:220:51
	s_wait_alu depctr_va_vcc(0)
	v_add_co_ci_u32_e64 v15, null, s1, v163, vcc_lo
	v_add_co_u32 v16, vcc_lo, s2, v162
	.loc	1 220 20                        ; attention_bwd.py:220:20
	s_add_nc_u64 s[24:25], s[62:63], s[72:73]
	.loc	1 220 51                        ; attention_bwd.py:220:51
	s_wait_alu depctr_va_vcc(0)
	v_add_co_ci_u32_e64 v17, null, s3, v163, vcc_lo
	s_wait_alu depctr_sa_sdst(0)
	;; [unrolled: 13-line block ×11, first 2 shown]
	v_add_co_u32 v75, vcc_lo, s0, v162
	.loc	1 220 20                        ; attention_bwd.py:220:20
	s_add_nc_u64 s[4:5], s[62:63], s[42:43]
	.loc	1 220 51                        ; attention_bwd.py:220:51
	s_wait_alu depctr_va_vcc(0)
	v_add_co_ci_u32_e64 v76, null, s1, v163, vcc_lo
	v_add_co_u32 v77, vcc_lo, s2, v162
	s_wait_alu depctr_va_vcc(0)
	v_add_co_ci_u32_e64 v78, null, s3, v163, vcc_lo
	s_wait_alu depctr_sa_sdst(0)
	v_add_co_u32 v79, vcc_lo, s4, v162
	s_wait_alu depctr_va_vcc(0)
	v_add_co_ci_u32_e64 v80, null, s5, v163, vcc_lo
	v_add_co_u32 v81, vcc_lo, s30, v162
	s_wait_alu depctr_va_vcc(0)
	v_add_co_ci_u32_e64 v82, null, s31, v163, vcc_lo
	.loc	1 220 16                        ; attention_bwd.py:220:16
	s_clause 0x1f
	global_load_u16 v30, v[30:31], off
	global_load_u16 v0, v[0:1], off
	;; [unrolled: 1-line block ×32, first 2 shown]
	s_clause 0x6                            ; 28-byte Folded Reload
	scratch_load_b32 v32, off, off offset:1112 th:TH_LOAD_LU
	scratch_load_b32 v33, off, off offset:1116 th:TH_LOAD_LU
	;; [unrolled: 1-line block ×7, first 2 shown]
	s_wait_loadcnt 0x6
	ds_store_b16 v32, v30
	ds_store_b16 v32, v7 offset:4096
	ds_store_b16 v32, v15 offset:8192
	ds_store_b16 v32, v23 offset:12288
	s_wait_loadcnt 0x5
	ds_store_b16 v33, v0 offset:512
	ds_store_b16 v33, v8 offset:4608
	ds_store_b16 v33, v16 offset:8704
	ds_store_b16 v33, v24 offset:12800
	s_wait_loadcnt 0x4
	ds_store_b16 v34, v1 offset:1024
	;; [unrolled: 5-line block ×3, first 2 shown]
	ds_store_b16 v35, v10 offset:5632
	ds_store_b16 v35, v18 offset:9728
	;; [unrolled: 1-line block ×7, first 2 shown]
	s_wait_loadcnt 0x2
	ds_store_b16 v55, v4 offset:2560
	ds_store_b16 v55, v12 offset:6656
	ds_store_b16 v55, v20 offset:10752
	ds_store_b16 v55, v28 offset:14848
	s_wait_loadcnt 0x1
	ds_store_b16 v56, v5 offset:3072
	ds_store_b16 v56, v13 offset:7168
	ds_store_b16 v56, v21 offset:11264
	ds_store_b16 v56, v29 offset:15360
	;; [unrolled: 5-line block ×3, first 2 shown]
	.loc	1 222 22 is_stmt 1              ; attention_bwd.py:222:22
	s_add_nc_u64 s[0:1], s[8:9], s[82:83]
	s_add_nc_u64 s[2:3], s[8:9], s[68:69]
	.loc	1 222 53 is_stmt 0              ; attention_bwd.py:222:53
	s_wait_alu depctr_sa_sdst(0)
	v_add_co_u32 v83, vcc_lo, s0, v162
	.loc	1 222 22                        ; attention_bwd.py:222:22
	s_add_nc_u64 s[4:5], s[8:9], s[70:71]
	.loc	1 222 53                        ; attention_bwd.py:222:53
	s_wait_alu depctr_va_vcc(0)
	v_add_co_ci_u32_e64 v84, null, s1, v163, vcc_lo
	v_add_co_u32 v85, vcc_lo, s2, v162
	.loc	1 222 22                        ; attention_bwd.py:222:22
	s_add_nc_u64 s[24:25], s[8:9], s[72:73]
	.loc	1 222 53                        ; attention_bwd.py:222:53
	s_wait_alu depctr_va_vcc(0)
	v_add_co_ci_u32_e64 v86, null, s3, v163, vcc_lo
	s_wait_alu depctr_sa_sdst(0)
	v_add_co_u32 v87, vcc_lo, s4, v162
	.loc	1 222 22                        ; attention_bwd.py:222:22
	s_add_nc_u64 s[30:31], s[8:9], s[74:75]
	.loc	1 222 53                        ; attention_bwd.py:222:53
	s_wait_alu depctr_va_vcc(0)
	v_add_co_ci_u32_e64 v88, null, s5, v163, vcc_lo
	v_add_co_u32 v89, vcc_lo, s24, v162
	.loc	1 222 22                        ; attention_bwd.py:222:22
	s_add_nc_u64 s[62:63], s[8:9], s[76:77]
	.loc	1 222 53                        ; attention_bwd.py:222:53
	s_wait_alu depctr_va_vcc(0)
	v_add_co_ci_u32_e64 v90, null, s25, v163, vcc_lo
	;; [unrolled: 13-line block ×11, first 2 shown]
	s_wait_alu depctr_sa_sdst(0)
	v_add_co_u32 v142, vcc_lo, s98, v162
	s_wait_alu depctr_va_vcc(0)
	v_add_co_ci_u32_e64 v143, null, s99, v163, vcc_lo
	v_add_co_u32 v144, vcc_lo, s8, v162
	s_wait_alu depctr_va_vcc(0)
	v_add_co_ci_u32_e64 v145, null, s9, v163, vcc_lo
	.loc	1 224 20 is_stmt 1              ; attention_bwd.py:224:20
	v_ashrrev_i32_e32 v153, 31, v152
	s_delay_alu instid0(VALU_DEP_1) | instskip(NEXT) | instid1(VALU_DEP_1)
	v_lshlrev_b64_e32 v[146:147], 2, v[152:153]
	v_add_co_u32 v148, vcc_lo, s44, v146
	s_wait_alu depctr_va_vcc(0)
	s_delay_alu instid0(VALU_DEP_2)
	v_add_co_ci_u32_e64 v149, null, s45, v147, vcc_lo
.Ltmp158:
	.loc	1 96 21                         ; attention_bwd.py:96:21 @[ attention_bwd.py:240:70 ]
	v_add_co_u32 v146, vcc_lo, s6, v146
	s_wait_alu depctr_va_vcc(0)
	v_add_co_ci_u32_e64 v147, null, s7, v147, vcc_lo
.Ltmp159:
	.loc	1 220 16                        ; attention_bwd.py:220:16
	s_mov_b32 s7, 0
	s_wait_storecnt_dscnt 0x0
	s_barrier_signal -1
	s_barrier_wait -1
	global_inv scope:SCOPE_SE
	.loc	1 222 17                        ; attention_bwd.py:222:17
	s_clause 0x7                            ; 36-byte Folded Reload
	scratch_load_b64 v[0:1], off, off offset:984 th:TH_LOAD_LU
	scratch_load_b32 v59, off, off offset:1148 th:TH_LOAD_LU
	scratch_load_b32 v60, off, off offset:1152 th:TH_LOAD_LU
	;; [unrolled: 1-line block ×7, first 2 shown]
	s_wait_loadcnt 0x7
	global_load_u16 v0, v[0:1], off
	scratch_load_b64 v[1:2], off, off offset:992 th:TH_LOAD_LU ; 8-byte Folded Reload
	s_wait_loadcnt 0x0
	global_load_u16 v1, v[1:2], off
	scratch_load_b64 v[2:3], off, off offset:1000 th:TH_LOAD_LU ; 8-byte Folded Reload
	;; [unrolled: 3-line block ×7, first 2 shown]
	s_wait_loadcnt 0x0
	s_clause 0x18
	global_load_u16 v7, v[7:8], off
	global_load_u16 v8, v[83:84], off
	;; [unrolled: 1-line block ×25, first 2 shown]
	scratch_load_b32 v58, off, off offset:1144 th:TH_LOAD_LU ; 4-byte Folded Reload
	.loc	1 220 16                        ; attention_bwd.py:220:16
	ds_load_b128 v[220:223], v59
	ds_load_b128 v[216:219], v60
	;; [unrolled: 1-line block ×7, first 2 shown]
	s_wait_loadcnt 0x0
	ds_load_b128 v[224:227], v58
	.loc	1 222 17                        ; attention_bwd.py:222:17
	s_wait_dscnt 0x0
	s_barrier_signal -1
	s_barrier_wait -1
	global_inv scope:SCOPE_SE
	ds_store_b16 v32, v0
	ds_store_b16 v32, v8 offset:4096
	ds_store_b16 v32, v16 offset:8192
	;; [unrolled: 1-line block ×31, first 2 shown]
	s_wait_loadcnt_dscnt 0x0
	s_barrier_signal -1
	s_barrier_wait -1
	global_inv scope:SCOPE_SE
.Ltmp160:
	.loc	1 102 21                        ; attention_bwd.py:102:21 @[ attention_bwd.py:240:70 ]
	s_clause 0x7
	global_load_u16 v0, v[37:38], off
	global_load_u16 v1, v[43:44], off
	;; [unrolled: 1-line block ×8, first 2 shown]
	.loc	1 103 21                        ; attention_bwd.py:103:21 @[ attention_bwd.py:240:70 ]
	s_clause 0x7
	global_load_u16 v8, v[39:40], off
	global_load_u16 v9, v[41:42], off
	global_load_u16 v10, v[45:46], off
	global_load_u16 v11, v[49:50], off
	global_load_u16 v12, v[53:54], off
	global_load_u16 v13, v[118:119], off
	global_load_u16 v14, v[124:125], off
	global_load_u16 v15, v[126:127], off
.Ltmp161:
	.loc	1 224 16                        ; attention_bwd.py:224:16
	global_load_b32 v192, v[148:149], off
.Ltmp162:
	.loc	1 96 17                         ; attention_bwd.py:96:17 @[ attention_bwd.py:240:70 ]
	global_load_b32 v190, v[146:147], off
.Ltmp163:
	.loc	1 222 17                        ; attention_bwd.py:222:17
	ds_load_b128 v[95:98], v58
	ds_load_b128 v[91:94], v59
	;; [unrolled: 1-line block ×8, first 2 shown]
.Ltmp164:
	.loc	1 102 21                        ; attention_bwd.py:102:21 @[ attention_bwd.py:240:70 ]
	s_wait_loadcnt_dscnt 0x0
	s_barrier_signal -1
	s_barrier_wait -1
	global_inv scope:SCOPE_SE
	ds_store_b16 v252, v0
	ds_store_b16 v252, v1 offset:512
	ds_store_b16 v252, v2 offset:1024
	;; [unrolled: 1-line block ×7, first 2 shown]
	.loc	1 103 21                        ; attention_bwd.py:103:21 @[ attention_bwd.py:240:70 ]
	ds_store_b16 v252, v8 offset:4096
	ds_store_b16 v252, v9 offset:4608
	;; [unrolled: 1-line block ×8, first 2 shown]
	scratch_load_b32 v0, off, off offset:1108 th:TH_LOAD_LU ; 4-byte Folded Reload
	v_mov_b32_e32 v8, 0
	s_clause 0x1                            ; 32-byte Folded Spill
	scratch_store_b128 off, v[66:69], off
	scratch_store_b128 off, v[72:75], off offset:32
	scratch_load_b64 v[77:78], off, off offset:968 ; 8-byte Folded Reload
	v_dual_mov_b32 v9, v8 :: v_dual_mov_b32 v10, v8
	v_dual_mov_b32 v11, v8 :: v_dual_mov_b32 v12, v8
	;; [unrolled: 1-line block ×14, first 2 shown]
	v_mov_b32_e32 v7, v8
	v_mov_b32_e32 v1, v8
	.loc	1 101 25                        ; attention_bwd.py:101:25 @[ attention_bwd.py:240:70 ]
	s_wait_loadcnt 0x1
	v_add_co_u32 v32, vcc_lo, s26, v0
	v_add_co_u32 v45, s0, s28, v0
	scratch_load_b32 v0, off, off offset:1100 th:TH_LOAD_LU ; 4-byte Folded Reload
	s_wait_loadcnt 0x0
	s_wait_alu depctr_va_sdst(0)
	v_add_co_ci_u32_e64 v46, null, s29, v0, s0
	s_wait_alu depctr_va_vcc(0)
	v_add_co_ci_u32_e64 v47, null, s27, v0, vcc_lo
	scratch_load_b32 v0, off, off offset:1104 th:TH_LOAD_LU ; 4-byte Folded Reload
	s_wait_loadcnt 0x0
	v_add_co_u32 v48, vcc_lo, s26, v0
	v_add_co_u32 v49, s0, s28, v0
	scratch_load_b32 v0, off, off offset:1092 th:TH_LOAD_LU ; 4-byte Folded Reload
	s_wait_loadcnt 0x0
	s_wait_alu depctr_va_sdst(0)
	v_add_co_ci_u32_e64 v50, null, s29, v0, s0
	s_wait_alu depctr_va_vcc(0)
	v_add_co_ci_u32_e64 v51, null, s27, v0, vcc_lo
	scratch_load_b32 v0, off, off offset:1096 th:TH_LOAD_LU ; 4-byte Folded Reload
	;; [unrolled: 10-line block ×7, first 2 shown]
	s_wait_loadcnt 0x0
	v_add_co_u32 v132, vcc_lo, s26, v0
	v_add_co_u32 v133, s0, s28, v0
	scratch_load_b32 v0, off, off offset:1048 th:TH_LOAD_LU ; 4-byte Folded Reload
	s_wait_loadcnt 0x0
	s_wait_alu depctr_va_sdst(0)
	v_add_co_ci_u32_e64 v134, null, s29, v0, s0
	s_wait_alu depctr_va_vcc(0)
	v_add_co_ci_u32_e64 v135, null, s27, v0, vcc_lo
	v_mov_b32_e32 v0, v8
.LBB0_146:                              ; =>This Inner Loop Header: Depth=1
	.loc	1 120 19                        ; attention_bwd.py:120:19 @[ attention_bwd.py:240:70 ]
	v_add_co_u32 v33, vcc_lo, v132, s20
	s_wait_alu depctr_va_vcc(0)
	s_delay_alu instid0(VALU_DEP_3)
	v_add_co_ci_u32_e64 v34, null, s21, v135, vcc_lo
	.loc	1 102 21                        ; attention_bwd.py:102:21 @[ attention_bwd.py:240:70 ]
	global_load_u16 v136, v[33:34], off
	.loc	1 120 19                        ; attention_bwd.py:120:19 @[ attention_bwd.py:240:70 ]
	v_add_co_u32 v33, vcc_lo, v128, s20
	s_wait_alu depctr_va_vcc(0)
	v_add_co_ci_u32_e64 v34, null, s21, v131, vcc_lo
	.loc	1 102 21                        ; attention_bwd.py:102:21 @[ attention_bwd.py:240:70 ]
	global_load_u16 v137, v[33:34], off
	.loc	1 120 19                        ; attention_bwd.py:120:19 @[ attention_bwd.py:240:70 ]
	v_add_co_u32 v33, vcc_lo, v124, s20
	s_wait_alu depctr_va_vcc(0)
	;; [unrolled: 6-line block ×8, first 2 shown]
	v_add_co_ci_u32_e64 v34, null, s21, v134, vcc_lo
	.loc	1 117 25                        ; attention_bwd.py:117:25 @[ attention_bwd.py:240:70 ]
	s_wait_storecnt 0x0
	s_wait_loadcnt_dscnt 0x0
	s_barrier_signal -1
	s_barrier_wait -1
	global_inv scope:SCOPE_SE
	.loc	1 102 21                        ; attention_bwd.py:102:21 @[ attention_bwd.py:240:70 ]
	ds_load_u16 v37, v201
	ds_load_u16 v38, v201 offset:64
	ds_load_u16 v39, v201 offset:128
	;; [unrolled: 1-line block ×7, first 2 shown]
	.loc	1 103 21                        ; attention_bwd.py:103:21 @[ attention_bwd.py:240:70 ]
	global_load_u16 v62, v[33:34], off
	.loc	1 121 19                        ; attention_bwd.py:121:19 @[ attention_bwd.py:240:70 ]
	v_add_co_u32 v33, vcc_lo, v129, s20
	s_wait_alu depctr_va_vcc(0)
	v_add_co_ci_u32_e64 v34, null, s21, v130, vcc_lo
	.loc	1 102 21                        ; attention_bwd.py:102:21 @[ attention_bwd.py:240:70 ]
	s_wait_dscnt 0x7
	ds_load_u16_d16_hi v37, v201 offset:32
	s_wait_dscnt 0x7
	ds_load_u16_d16_hi v38, v201 offset:96
	;; [unrolled: 2-line block ×8, first 2 shown]
	.loc	1 103 21                        ; attention_bwd.py:103:21 @[ attention_bwd.py:240:70 ]
	global_load_u16 v63, v[33:34], off
	.loc	1 121 19                        ; attention_bwd.py:121:19 @[ attention_bwd.py:240:70 ]
	v_add_co_u32 v33, vcc_lo, v125, s20
	s_wait_alu depctr_va_vcc(0)
	v_add_co_ci_u32_e64 v34, null, s21, v126, vcc_lo
	.loc	1 104 23                        ; attention_bwd.py:104:23 @[ attention_bwd.py:240:70 ]
	s_wait_dscnt 0x4
	v_wmma_f32_16x16x16_f16 v[144:151], v[37:40], v[224:227], 0
	s_wait_dscnt 0x0
	s_delay_alu instid0(VALU_DEP_1)
	v_wmma_f32_16x16x16_f16 v[144:151], v[41:44], v[220:223], v[144:151]
	.loc	1 102 21                        ; attention_bwd.py:102:21 @[ attention_bwd.py:240:70 ]
	ds_load_u16 v37, v201 offset:1024
	ds_load_u16 v38, v201 offset:1088
	ds_load_u16 v39, v201 offset:1152
	ds_load_u16 v40, v201 offset:1216
	ds_load_u16 v41, v201 offset:1536
	ds_load_u16 v42, v201 offset:1600
	ds_load_u16 v43, v201 offset:1664
	ds_load_u16 v44, v201 offset:1728
	s_wait_dscnt 0x7
	ds_load_u16_d16_hi v37, v201 offset:1056
	s_wait_dscnt 0x7
	ds_load_u16_d16_hi v38, v201 offset:1120
	s_wait_dscnt 0x7
	ds_load_u16_d16_hi v39, v201 offset:1184
	s_wait_dscnt 0x7
	ds_load_u16_d16_hi v40, v201 offset:1248
	s_wait_dscnt 0x7
	ds_load_u16_d16_hi v41, v201 offset:1568
	s_wait_dscnt 0x7
	ds_load_u16_d16_hi v42, v201 offset:1632
	s_wait_dscnt 0x7
	ds_load_u16_d16_hi v43, v201 offset:1696
	s_wait_dscnt 0x7
	ds_load_u16_d16_hi v44, v201 offset:1760
	.loc	1 104 23                        ; attention_bwd.py:104:23 @[ attention_bwd.py:240:70 ]
	s_wait_dscnt 0x4
	v_wmma_f32_16x16x16_f16 v[144:151], v[37:40], v[216:219], v[144:151]
	s_wait_dscnt 0x0
	s_delay_alu instid0(VALU_DEP_1)
	v_wmma_f32_16x16x16_f16 v[144:151], v[41:44], v[212:215], v[144:151]
	.loc	1 102 21                        ; attention_bwd.py:102:21 @[ attention_bwd.py:240:70 ]
	ds_load_u16 v37, v201 offset:2048
	ds_load_u16 v38, v201 offset:2112
	ds_load_u16 v39, v201 offset:2176
	ds_load_u16 v40, v201 offset:2240
	ds_load_u16 v41, v201 offset:2560
	ds_load_u16 v42, v201 offset:2624
	ds_load_u16 v43, v201 offset:2688
	ds_load_u16 v44, v201 offset:2752
	s_wait_dscnt 0x7
	ds_load_u16_d16_hi v37, v201 offset:2080
	s_wait_dscnt 0x7
	ds_load_u16_d16_hi v38, v201 offset:2144
	s_wait_dscnt 0x7
	ds_load_u16_d16_hi v39, v201 offset:2208
	s_wait_dscnt 0x7
	ds_load_u16_d16_hi v40, v201 offset:2272
	s_wait_dscnt 0x7
	ds_load_u16_d16_hi v41, v201 offset:2592
	s_wait_dscnt 0x7
	ds_load_u16_d16_hi v42, v201 offset:2656
	s_wait_dscnt 0x7
	ds_load_u16_d16_hi v43, v201 offset:2720
	s_wait_dscnt 0x7
	ds_load_u16_d16_hi v44, v201 offset:2784
	;; [unrolled: 31-line block ×3, first 2 shown]
	.loc	1 104 23                        ; attention_bwd.py:104:23 @[ attention_bwd.py:240:70 ]
	s_wait_dscnt 0x4
	v_wmma_f32_16x16x16_f16 v[144:151], v[37:40], v[66:69], v[144:151]
	.loc	1 103 21                        ; attention_bwd.py:103:21 @[ attention_bwd.py:240:70 ]
	ds_load_u16 v64, v201 offset:4096
	ds_load_u16 v65, v201 offset:4160
	;; [unrolled: 1-line block ×8, first 2 shown]
	s_wait_dscnt 0x7
	ds_load_u16_d16_hi v64, v201 offset:4128
	s_wait_dscnt 0x7
	ds_load_u16_d16_hi v65, v201 offset:4192
	;; [unrolled: 2-line block ×8, first 2 shown]
	.loc	1 104 23                        ; attention_bwd.py:104:23 @[ attention_bwd.py:240:70 ]
	v_wmma_f32_16x16x16_f16 v[144:151], v[41:44], v[72:75], v[144:151]
	.loc	1 103 21                        ; attention_bwd.py:103:21 @[ attention_bwd.py:240:70 ]
	global_load_u16 v72, v[33:34], off
	.loc	1 121 19                        ; attention_bwd.py:121:19 @[ attention_bwd.py:240:70 ]
	v_add_co_u32 v33, vcc_lo, v121, s20
	s_wait_alu depctr_va_vcc(0)
	v_add_co_ci_u32_e64 v34, null, s21, v122, vcc_lo
	.loc	1 103 21                        ; attention_bwd.py:103:21 @[ attention_bwd.py:240:70 ]
	global_load_u16 v73, v[33:34], off
	.loc	1 121 19                        ; attention_bwd.py:121:19 @[ attention_bwd.py:240:70 ]
	v_add_co_u32 v33, vcc_lo, v117, s20
	s_wait_alu depctr_va_vcc(0)
	v_add_co_ci_u32_e64 v34, null, s21, v118, vcc_lo
	.loc	1 112 24                        ; attention_bwd.py:112:24 @[ attention_bwd.py:240:70 ]
	s_wait_dscnt 0x4
	v_wmma_f32_16x16x16_f16 v[37:44], v[64:67], v[95:98], 0
	.loc	1 103 21                        ; attention_bwd.py:103:21 @[ attention_bwd.py:240:70 ]
	global_load_u16 v74, v[33:34], off
	.loc	1 121 19                        ; attention_bwd.py:121:19 @[ attention_bwd.py:240:70 ]
	v_add_co_u32 v33, vcc_lo, v53, s20
	.loc	1 112 24                        ; attention_bwd.py:112:24 @[ attention_bwd.py:240:70 ]
	s_wait_dscnt 0x0
	v_wmma_f32_16x16x16_f16 v[37:44], v[68:71], v[91:94], v[37:44]
	.loc	1 103 21                        ; attention_bwd.py:103:21 @[ attention_bwd.py:240:70 ]
	ds_load_u16 v64, v201 offset:5120
	ds_load_u16 v65, v201 offset:5184
	;; [unrolled: 1-line block ×8, first 2 shown]
	.loc	1 121 19                        ; attention_bwd.py:121:19 @[ attention_bwd.py:240:70 ]
	s_wait_alu depctr_va_vcc(0)
	v_add_co_ci_u32_e64 v34, null, s21, v54, vcc_lo
	.loc	1 103 21                        ; attention_bwd.py:103:21 @[ attention_bwd.py:240:70 ]
	s_wait_dscnt 0x7
	ds_load_u16_d16_hi v64, v201 offset:5152
	s_wait_dscnt 0x7
	ds_load_u16_d16_hi v65, v201 offset:5216
	;; [unrolled: 2-line block ×8, first 2 shown]
	global_load_u16 v75, v[33:34], off
	.loc	1 121 19                        ; attention_bwd.py:121:19 @[ attention_bwd.py:240:70 ]
	v_add_co_u32 v33, vcc_lo, v49, s20
	s_wait_alu depctr_va_vcc(0)
	v_add_co_ci_u32_e64 v34, null, s21, v50, vcc_lo
	.loc	1 103 21                        ; attention_bwd.py:103:21 @[ attention_bwd.py:240:70 ]
	global_load_u16 v76, v[33:34], off
	.loc	1 102 21                        ; attention_bwd.py:102:21 @[ attention_bwd.py:240:70 ]
	v_add_co_u32 v33, vcc_lo, v45, s20
	s_wait_alu depctr_va_vcc(0)
	v_add_co_ci_u32_e64 v34, null, s21, v46, vcc_lo
	.loc	1 112 24                        ; attention_bwd.py:112:24 @[ attention_bwd.py:240:70 ]
	s_wait_dscnt 0x4
	v_wmma_f32_16x16x16_f16 v[37:44], v[64:67], v[112:115], v[37:44]
	.loc	1 103 21                        ; attention_bwd.py:103:21 @[ attention_bwd.py:240:70 ]
	global_load_u16 v33, v[33:34], off
	.loc	1 112 24                        ; attention_bwd.py:112:24 @[ attention_bwd.py:240:70 ]
	s_wait_dscnt 0x0
	v_wmma_f32_16x16x16_f16 v[37:44], v[68:71], v[87:90], v[37:44]
	.loc	1 103 21                        ; attention_bwd.py:103:21 @[ attention_bwd.py:240:70 ]
	ds_load_u16 v64, v201 offset:6144
	ds_load_u16 v65, v201 offset:6208
	;; [unrolled: 1-line block ×8, first 2 shown]
	s_wait_dscnt 0x7
	ds_load_u16_d16_hi v64, v201 offset:6176
	s_wait_dscnt 0x7
	ds_load_u16_d16_hi v65, v201 offset:6240
	s_wait_dscnt 0x7
	ds_load_u16_d16_hi v66, v201 offset:6304
	s_wait_dscnt 0x7
	ds_load_u16_d16_hi v67, v201 offset:6368
	s_wait_dscnt 0x7
	ds_load_u16_d16_hi v68, v201 offset:6688
	s_wait_dscnt 0x7
	ds_load_u16_d16_hi v69, v201 offset:6752
	s_wait_dscnt 0x7
	ds_load_u16_d16_hi v70, v201 offset:6816
	s_wait_dscnt 0x7
	ds_load_u16_d16_hi v71, v201 offset:6880
	.loc	1 112 24                        ; attention_bwd.py:112:24 @[ attention_bwd.py:240:70 ]
	s_wait_dscnt 0x4
	v_wmma_f32_16x16x16_f16 v[37:44], v[64:67], v[83:86], v[37:44]
	s_wait_dscnt 0x0
	s_delay_alu instid0(VALU_DEP_1)
	v_wmma_f32_16x16x16_f16 v[37:44], v[68:71], v[79:82], v[37:44]
	.loc	1 103 21                        ; attention_bwd.py:103:21 @[ attention_bwd.py:240:70 ]
	ds_load_u16 v64, v201 offset:7168
	ds_load_u16 v65, v201 offset:7232
	ds_load_u16 v66, v201 offset:7296
	ds_load_u16 v67, v201 offset:7360
	ds_load_u16 v68, v201 offset:7680
	ds_load_u16 v69, v201 offset:7744
	ds_load_u16 v70, v201 offset:7808
	ds_load_u16 v71, v201 offset:7872
	s_wait_dscnt 0x7
	ds_load_u16_d16_hi v64, v201 offset:7200
	s_wait_dscnt 0x7
	ds_load_u16_d16_hi v65, v201 offset:7264
	;; [unrolled: 2-line block ×8, first 2 shown]
	.loc	1 112 24                        ; attention_bwd.py:112:24 @[ attention_bwd.py:240:70 ]
	s_wait_dscnt 0x4
	v_wmma_f32_16x16x16_f16 v[37:44], v[64:67], v[157:160], v[37:44]
	s_wait_dscnt 0x0
	s_delay_alu instid0(VALU_DEP_1) | instskip(SKIP_3) | instid1(VALU_DEP_4)
	v_wmma_f32_16x16x16_f16 v[37:44], v[68:71], v[161:164], v[37:44]
	.loc	1 105 30                        ; attention_bwd.py:105:30 @[ attention_bwd.py:240:70 ]
	v_sub_f32_e32 v36, v145, v192
	v_sub_f32_e32 v35, v144, v192
	;; [unrolled: 1-line block ×3, first 2 shown]
	v_dual_sub_f32 v57, v147, v192 :: v_dual_sub_f32 v40, v40, v190
	.loc	1 113 23                        ; attention_bwd.py:113:23 @[ attention_bwd.py:240:70 ]
	v_sub_f32_e32 v39, v39, v190
	.loc	1 105 25                        ; attention_bwd.py:105:25 @[ attention_bwd.py:240:70 ]
	v_exp_f32_e32 v34, v36
	.loc	1 108 30                        ; attention_bwd.py:108:30 @[ attention_bwd.py:240:70 ]
	s_wait_alu depctr_sa_sdst(0)
	v_add_nc_u32_e32 v36, s7, v77
	.loc	1 105 30                        ; attention_bwd.py:105:30 @[ attention_bwd.py:240:70 ]
	v_dual_sub_f32 v58, v148, v192 :: v_dual_sub_f32 v41, v41, v190
	.loc	1 113 23                        ; attention_bwd.py:113:23 @[ attention_bwd.py:240:70 ]
	v_sub_f32_e32 v38, v38, v190
	.loc	1 105 25                        ; attention_bwd.py:105:25 @[ attention_bwd.py:240:70 ]
	v_exp_f32_e32 v35, v35
	s_delay_alu instid0(VALU_DEP_3) | instskip(SKIP_2) | instid1(VALU_DEP_3)
	.loc	1 108 30                        ; attention_bwd.py:108:30 @[ attention_bwd.py:240:70 ]
	v_add_nc_u32_e32 v64, 1, v36
	.loc	1 105 30                        ; attention_bwd.py:105:30 @[ attention_bwd.py:240:70 ]
	v_dual_sub_f32 v59, v149, v192 :: v_dual_sub_f32 v42, v42, v190
	v_dual_sub_f32 v60, v150, v192 :: v_dual_sub_f32 v43, v43, v190
	.loc	1 110 34                        ; attention_bwd.py:110:34 @[ attention_bwd.py:240:70 ]
	v_cmp_ge_i32_e32 vcc_lo, v152, v64
	.loc	1 108 30                        ; attention_bwd.py:108:30 @[ attention_bwd.py:240:70 ]
	v_add_nc_u32_e32 v64, 2, v36
	.loc	1 105 30                        ; attention_bwd.py:105:30 @[ attention_bwd.py:240:70 ]
	v_dual_sub_f32 v61, v151, v192 :: v_dual_sub_f32 v44, v44, v190
	.loc	1 113 23                        ; attention_bwd.py:113:23 @[ attention_bwd.py:240:70 ]
	v_sub_f32_e32 v37, v37, v190
	.loc	1 105 25                        ; attention_bwd.py:105:25 @[ attention_bwd.py:240:70 ]
	v_exp_f32_e32 v56, v56
	s_delay_alu instid0(VALU_DEP_3)
	.loc	1 110 34                        ; attention_bwd.py:110:34 @[ attention_bwd.py:240:70 ]
	v_cmp_ge_i32_e64 s0, v152, v64
	.loc	1 108 30                        ; attention_bwd.py:108:30 @[ attention_bwd.py:240:70 ]
	v_add_nc_u32_e32 v64, 3, v36
	.loc	1 105 25                        ; attention_bwd.py:105:25 @[ attention_bwd.py:240:70 ]
	v_exp_f32_e32 v57, v57
	v_exp_f32_e32 v58, v58
	.loc	1 110 34                        ; attention_bwd.py:110:34 @[ attention_bwd.py:240:70 ]
	v_cmp_ge_i32_e64 s6, v152, v36
	.loc	1 105 25                        ; attention_bwd.py:105:25 @[ attention_bwd.py:240:70 ]
	v_exp_f32_e32 v59, v59
	.loc	1 110 34                        ; attention_bwd.py:110:34 @[ attention_bwd.py:240:70 ]
	v_cmp_ge_i32_e64 s1, v152, v64
	.loc	1 108 30                        ; attention_bwd.py:108:30 @[ attention_bwd.py:240:70 ]
	v_add_nc_u32_e32 v64, 4, v36
	.loc	1 105 25                        ; attention_bwd.py:105:25 @[ attention_bwd.py:240:70 ]
	v_exp_f32_e32 v60, v60
	v_exp_f32_e32 v61, v61
	.loc	1 110 34                        ; attention_bwd.py:110:34 @[ attention_bwd.py:240:70 ]
	s_wait_alu depctr_va_sdst(0)
	v_cndmask_b32_e64 v35, 0, v35, s6
	s_wait_alu depctr_va_vcc(0)
	v_cndmask_b32_e32 v34, 0, v34, vcc_lo
	v_cmp_ge_i32_e64 s2, v152, v64
	.loc	1 108 30                        ; attention_bwd.py:108:30 @[ attention_bwd.py:240:70 ]
	v_add_nc_u32_e32 v64, 5, v36
	.loc	1 101 25                        ; attention_bwd.py:101:25 @[ attention_bwd.py:240:70 ]
	v_add_co_u32 v45, vcc_lo, v45, s40
	.loc	1 114 19                        ; attention_bwd.py:114:19 @[ attention_bwd.py:240:70 ]
	v_fma_mixlo_f16 v35, v35, v37, 0
	v_fma_mixlo_f16 v34, v34, v38, 0
	s_delay_alu instid0(VALU_DEP_4)
	.loc	1 110 34                        ; attention_bwd.py:110:34 @[ attention_bwd.py:240:70 ]
	v_cmp_ge_i32_e64 s3, v152, v64
	.loc	1 108 30                        ; attention_bwd.py:108:30 @[ attention_bwd.py:240:70 ]
	v_add_nc_u32_e32 v64, 6, v36
	.loc	1 110 34                        ; attention_bwd.py:110:34 @[ attention_bwd.py:240:70 ]
	v_cndmask_b32_e64 v37, 0, v57, s1
	s_wait_alu depctr_va_sdst(0)
	v_cndmask_b32_e64 v38, 0, v58, s2
	.loc	1 101 25                        ; attention_bwd.py:101:25 @[ attention_bwd.py:240:70 ]
	s_wait_alu depctr_va_vcc(0)
	v_add_co_ci_u32_e64 v46, null, s41, v46, vcc_lo
	.loc	1 110 34                        ; attention_bwd.py:110:34 @[ attention_bwd.py:240:70 ]
	v_cmp_ge_i32_e64 s4, v152, v64
	.loc	1 109 39                        ; attention_bwd.py:109:39 @[ attention_bwd.py:240:70 ]
	v_add_nc_u32_e32 v64, 7, v36
	.loc	1 110 34                        ; attention_bwd.py:110:34 @[ attention_bwd.py:240:70 ]
	v_cndmask_b32_e64 v36, 0, v56, s0
	.loc	1 114 19                        ; attention_bwd.py:114:19 @[ attention_bwd.py:240:70 ]
	v_fma_mixlo_f16 v37, v37, v40, 0
	v_fma_mixlo_f16 v38, v38, v41, 0
	.loc	1 110 34                        ; attention_bwd.py:110:34 @[ attention_bwd.py:240:70 ]
	s_wait_alu depctr_va_sdst(0)
	v_cndmask_b32_e64 v40, 0, v60, s4
	v_cmp_ge_i32_e64 s5, v152, v64
	.loc	1 114 19                        ; attention_bwd.py:114:19 @[ attention_bwd.py:240:70 ]
	v_fma_mixlo_f16 v36, v36, v39, 0
	.loc	1 110 34                        ; attention_bwd.py:110:34 @[ attention_bwd.py:240:70 ]
	v_cndmask_b32_e64 v39, 0, v59, s3
	.loc	1 101 25                        ; attention_bwd.py:101:25 @[ attention_bwd.py:240:70 ]
	v_add_co_u32 v49, vcc_lo, v49, s40
	.loc	1 110 34                        ; attention_bwd.py:110:34 @[ attention_bwd.py:240:70 ]
	s_wait_alu depctr_va_sdst(0)
	v_cndmask_b32_e64 v41, 0, v61, s5
	.loc	1 114 19                        ; attention_bwd.py:114:19 @[ attention_bwd.py:240:70 ]
	v_fma_mixlo_f16 v40, v40, v43, 0
	v_fma_mixlo_f16 v39, v39, v42, 0
	.loc	1 101 25                        ; attention_bwd.py:101:25 @[ attention_bwd.py:240:70 ]
	s_wait_alu depctr_va_vcc(0)
	v_add_co_ci_u32_e64 v50, null, s41, v50, vcc_lo
	.loc	1 114 19                        ; attention_bwd.py:114:19 @[ attention_bwd.py:240:70 ]
	v_fma_mixlo_f16 v41, v41, v44, 0
	ds_store_b16 v194, v35 offset:8192
	ds_store_b16 v194, v34 offset:8320
	;; [unrolled: 1-line block ×8, first 2 shown]
	.loc	1 117 25                        ; attention_bwd.py:117:25 @[ attention_bwd.py:240:70 ]
	ds_load_b128 v[37:40], v193
	ds_load_b128 v[41:44], v193 offset:1024
	ds_load_b128 v[64:67], v193 offset:2048
	;; [unrolled: 1-line block ×3, first 2 shown]
	.loc	1 101 25                        ; attention_bwd.py:101:25 @[ attention_bwd.py:240:70 ]
	v_add_co_u32 v53, vcc_lo, v53, s40
	s_wait_alu depctr_va_vcc(0)
	v_add_co_ci_u32_e64 v54, null, s41, v54, vcc_lo
	v_add_co_u32 v117, vcc_lo, v117, s40
	s_wait_alu depctr_va_vcc(0)
	v_add_co_ci_u32_e64 v118, null, s41, v118, vcc_lo
	;; [unrolled: 3-line block ×14, first 2 shown]
	s_add_co_i32 s7, s7, 16
	s_wait_alu depctr_sa_sdst(0)
	s_cmp_lg_u32 s7, 48
	.loc	1 114 19                        ; attention_bwd.py:114:19 @[ attention_bwd.py:240:70 ]
	s_wait_loadcnt_dscnt 0x0
	s_barrier_signal -1
	s_barrier_wait -1
	global_inv scope:SCOPE_SE
	ds_load_u16 v144, v195 offset:8192
	ds_load_u16 v145, v195 offset:8448
	;; [unrolled: 1-line block ×4, first 2 shown]
	s_wait_dscnt 0x3
	ds_load_u16_d16_hi v144, v195 offset:8320
	s_wait_dscnt 0x3
	ds_load_u16_d16_hi v145, v195 offset:8576
	;; [unrolled: 2-line block ×4, first 2 shown]
	.loc	1 102 21                        ; attention_bwd.py:102:21 @[ attention_bwd.py:240:70 ]
	ds_store_b16 v252, v136
	ds_store_b16 v252, v137 offset:512
	ds_store_b16 v252, v138 offset:1024
	;; [unrolled: 1-line block ×7, first 2 shown]
	.loc	1 103 21                        ; attention_bwd.py:103:21 @[ attention_bwd.py:240:70 ]
	ds_store_b16 v252, v62 offset:4096
	ds_store_b16 v252, v63 offset:4608
	;; [unrolled: 1-line block ×6, first 2 shown]
	scratch_load_b128 v[72:75], off, off offset:32 ; 16-byte Folded Reload
	ds_store_b16 v252, v76 offset:7168
	ds_store_b16 v252, v33 offset:7680
	.loc	1 117 25                        ; attention_bwd.py:117:25 @[ attention_bwd.py:240:70 ]
	s_wait_dscnt 0x10
	v_wmma_f32_16x16x16_f16 v[24:31], v[64:67], v[144:147], v[24:31]
	v_wmma_f32_16x16x16_f16 v[0:7], v[68:71], v[144:147], v[0:7]
	scratch_load_b128 v[66:69], off, off    ; 16-byte Folded Reload
	v_wmma_f32_16x16x16_f16 v[8:15], v[37:40], v[144:147], v[8:15]
	v_wmma_f32_16x16x16_f16 v[16:23], v[41:44], v[144:147], v[16:23]
	.loc	1 101 25                        ; attention_bwd.py:101:25 @[ attention_bwd.py:240:70 ]
	s_cbranch_scc1 .LBB0_146
; %bb.147:
	.loc	1 117 25                        ; attention_bwd.py:117:25 @[ attention_bwd.py:240:70 ]
	s_wait_loadcnt_dscnt 0x0
	s_barrier_signal -1
	.loc	1 101 25                        ; attention_bwd.py:101:25 @[ attention_bwd.py:240:70 ]
	s_add_co_i32 s6, s34, s7
	v_dual_mov_b32 v147, v111 :: v_dual_mov_b32 v144, v108
	v_readlane_b32 s8, v254, 12
	v_readlane_b32 s12, v254, 14
	;; [unrolled: 1-line block ×5, first 2 shown]
	v_dual_mov_b32 v145, v109 :: v_dual_mov_b32 v104, v208
	v_readlane_b32 s9, v254, 13
	v_readlane_b32 s13, v254, 15
	;; [unrolled: 1-line block ×5, first 2 shown]
	.loc	1 117 25                        ; attention_bwd.py:117:25 @[ attention_bwd.py:240:70 ]
	s_barrier_wait -1
	global_inv scope:SCOPE_SE
	.loc	1 102 21                        ; attention_bwd.py:102:21 @[ attention_bwd.py:240:70 ]
	ds_load_u16 v45, v201
	ds_load_u16 v46, v201 offset:64
	ds_load_u16 v47, v201 offset:128
	;; [unrolled: 1-line block ×7, first 2 shown]
	v_dual_mov_b32 v105, v209 :: v_dual_mov_b32 v106, v210
	v_mov_b32_e32 v107, v211
	s_wait_dscnt 0x7
	ds_load_u16_d16_hi v45, v201 offset:32
	s_wait_dscnt 0x7
	ds_load_u16_d16_hi v46, v201 offset:96
	;; [unrolled: 2-line block ×8, first 2 shown]
	v_mov_b32_e32 v146, v110
	.loc	1 104 23                        ; attention_bwd.py:104:23 @[ attention_bwd.py:240:70 ]
	s_wait_dscnt 0x4
	v_wmma_f32_16x16x16_f16 v[37:44], v[45:48], v[224:227], 0
	s_wait_dscnt 0x0
	s_delay_alu instid0(VALU_DEP_1)
	v_wmma_f32_16x16x16_f16 v[37:44], v[49:52], v[220:223], v[37:44]
	.loc	1 102 21                        ; attention_bwd.py:102:21 @[ attention_bwd.py:240:70 ]
	ds_load_u16 v45, v201 offset:1024
	ds_load_u16 v46, v201 offset:1088
	ds_load_u16 v47, v201 offset:1152
	ds_load_u16 v48, v201 offset:1216
	ds_load_u16 v49, v201 offset:1536
	ds_load_u16 v50, v201 offset:1600
	ds_load_u16 v51, v201 offset:1664
	ds_load_u16 v52, v201 offset:1728
	s_wait_dscnt 0x7
	ds_load_u16_d16_hi v45, v201 offset:1056
	s_wait_dscnt 0x7
	ds_load_u16_d16_hi v46, v201 offset:1120
	s_wait_dscnt 0x7
	ds_load_u16_d16_hi v47, v201 offset:1184
	s_wait_dscnt 0x7
	ds_load_u16_d16_hi v48, v201 offset:1248
	s_wait_dscnt 0x7
	ds_load_u16_d16_hi v49, v201 offset:1568
	s_wait_dscnt 0x7
	ds_load_u16_d16_hi v50, v201 offset:1632
	s_wait_dscnt 0x7
	ds_load_u16_d16_hi v51, v201 offset:1696
	s_wait_dscnt 0x7
	ds_load_u16_d16_hi v52, v201 offset:1760
	.loc	1 104 23                        ; attention_bwd.py:104:23 @[ attention_bwd.py:240:70 ]
	s_wait_dscnt 0x4
	v_wmma_f32_16x16x16_f16 v[37:44], v[45:48], v[216:219], v[37:44]
	s_wait_dscnt 0x0
	s_delay_alu instid0(VALU_DEP_1)
	v_wmma_f32_16x16x16_f16 v[37:44], v[49:52], v[212:215], v[37:44]
	.loc	1 102 21                        ; attention_bwd.py:102:21 @[ attention_bwd.py:240:70 ]
	ds_load_u16 v45, v201 offset:2048
	ds_load_u16 v46, v201 offset:2112
	ds_load_u16 v47, v201 offset:2176
	ds_load_u16 v48, v201 offset:2240
	ds_load_u16 v49, v201 offset:2560
	ds_load_u16 v50, v201 offset:2624
	ds_load_u16 v51, v201 offset:2688
	ds_load_u16 v52, v201 offset:2752
	s_wait_dscnt 0x7
	ds_load_u16_d16_hi v45, v201 offset:2080
	s_wait_dscnt 0x7
	ds_load_u16_d16_hi v46, v201 offset:2144
	s_wait_dscnt 0x7
	ds_load_u16_d16_hi v47, v201 offset:2208
	s_wait_dscnt 0x7
	ds_load_u16_d16_hi v48, v201 offset:2272
	s_wait_dscnt 0x7
	ds_load_u16_d16_hi v49, v201 offset:2592
	s_wait_dscnt 0x7
	ds_load_u16_d16_hi v50, v201 offset:2656
	s_wait_dscnt 0x7
	ds_load_u16_d16_hi v51, v201 offset:2720
	s_wait_dscnt 0x7
	ds_load_u16_d16_hi v52, v201 offset:2784
	;; [unrolled: 31-line block ×4, first 2 shown]
	.loc	1 105 30                        ; attention_bwd.py:105:30 @[ attention_bwd.py:240:70 ]
	v_sub_f32_e32 v32, v37, v192
	v_sub_f32_e32 v33, v38, v192
	;; [unrolled: 1-line block ×8, first 2 shown]
	.loc	1 112 24                        ; attention_bwd.py:112:24 @[ attention_bwd.py:240:70 ]
	s_wait_dscnt 0x4
	v_wmma_f32_16x16x16_f16 v[37:44], v[45:48], v[95:98], 0
	s_wait_dscnt 0x0
	s_delay_alu instid0(VALU_DEP_1)
	v_wmma_f32_16x16x16_f16 v[37:44], v[49:52], v[91:94], v[37:44]
	.loc	1 103 21                        ; attention_bwd.py:103:21 @[ attention_bwd.py:240:70 ]
	ds_load_u16 v45, v201 offset:5120
	ds_load_u16 v46, v201 offset:5184
	ds_load_u16 v47, v201 offset:5248
	ds_load_u16 v48, v201 offset:5312
	ds_load_u16 v49, v201 offset:5632
	ds_load_u16 v50, v201 offset:5696
	ds_load_u16 v51, v201 offset:5760
	ds_load_u16 v52, v201 offset:5824
	s_wait_dscnt 0x7
	ds_load_u16_d16_hi v45, v201 offset:5152
	s_wait_dscnt 0x7
	ds_load_u16_d16_hi v46, v201 offset:5216
	s_wait_dscnt 0x7
	ds_load_u16_d16_hi v47, v201 offset:5280
	s_wait_dscnt 0x7
	ds_load_u16_d16_hi v48, v201 offset:5344
	s_wait_dscnt 0x7
	ds_load_u16_d16_hi v49, v201 offset:5664
	s_wait_dscnt 0x7
	ds_load_u16_d16_hi v50, v201 offset:5728
	s_wait_dscnt 0x7
	ds_load_u16_d16_hi v51, v201 offset:5792
	s_wait_dscnt 0x7
	ds_load_u16_d16_hi v52, v201 offset:5856
	.loc	1 112 24                        ; attention_bwd.py:112:24 @[ attention_bwd.py:240:70 ]
	s_wait_dscnt 0x4
	v_wmma_f32_16x16x16_f16 v[37:44], v[45:48], v[112:115], v[37:44]
	s_wait_dscnt 0x0
	s_delay_alu instid0(VALU_DEP_1)
	v_wmma_f32_16x16x16_f16 v[37:44], v[49:52], v[87:90], v[37:44]
	.loc	1 103 21                        ; attention_bwd.py:103:21 @[ attention_bwd.py:240:70 ]
	ds_load_u16 v45, v201 offset:6144
	ds_load_u16 v46, v201 offset:6208
	ds_load_u16 v47, v201 offset:6272
	ds_load_u16 v48, v201 offset:6336
	ds_load_u16 v49, v201 offset:6656
	ds_load_u16 v50, v201 offset:6720
	ds_load_u16 v51, v201 offset:6784
	ds_load_u16 v52, v201 offset:6848
	s_wait_dscnt 0x7
	ds_load_u16_d16_hi v45, v201 offset:6176
	s_wait_dscnt 0x7
	ds_load_u16_d16_hi v46, v201 offset:6240
	s_wait_dscnt 0x7
	ds_load_u16_d16_hi v47, v201 offset:6304
	s_wait_dscnt 0x7
	ds_load_u16_d16_hi v48, v201 offset:6368
	s_wait_dscnt 0x7
	ds_load_u16_d16_hi v49, v201 offset:6688
	s_wait_dscnt 0x7
	ds_load_u16_d16_hi v50, v201 offset:6752
	s_wait_dscnt 0x7
	ds_load_u16_d16_hi v51, v201 offset:6816
	s_wait_dscnt 0x7
	ds_load_u16_d16_hi v52, v201 offset:6880
	;; [unrolled: 31-line block ×3, first 2 shown]
	.loc	1 112 24                        ; attention_bwd.py:112:24 @[ attention_bwd.py:240:70 ]
	s_wait_dscnt 0x4
	v_wmma_f32_16x16x16_f16 v[37:44], v[45:48], v[157:160], v[37:44]
	s_wait_dscnt 0x0
	s_delay_alu instid0(VALU_DEP_1)
	v_wmma_f32_16x16x16_f16 v[37:44], v[49:52], v[161:164], v[37:44]
	scratch_load_b32 v49, off, off offset:1256 th:TH_LOAD_LU ; 4-byte Folded Reload
	.loc	1 113 23                        ; attention_bwd.py:113:23 @[ attention_bwd.py:240:70 ]
	v_sub_f32_e32 v37, v37, v190
	v_sub_f32_e32 v39, v39, v190
	;; [unrolled: 1-line block ×3, first 2 shown]
	.loc	1 105 25                        ; attention_bwd.py:105:25 @[ attention_bwd.py:240:70 ]
	v_exp_f32_e32 v33, v33
	v_exp_f32_e32 v34, v34
	;; [unrolled: 1-line block ×3, first 2 shown]
	.loc	1 113 23                        ; attention_bwd.py:113:23 @[ attention_bwd.py:240:70 ]
	v_sub_f32_e32 v38, v38, v190
	.loc	1 105 25                        ; attention_bwd.py:105:25 @[ attention_bwd.py:240:70 ]
	v_exp_f32_e32 v35, v35
	.loc	1 113 23                        ; attention_bwd.py:113:23 @[ attention_bwd.py:240:70 ]
	v_sub_f32_e32 v43, v43, v190
	.loc	1 105 25                        ; attention_bwd.py:105:25 @[ attention_bwd.py:240:70 ]
	v_exp_f32_e32 v36, v36
	.loc	1 113 23                        ; attention_bwd.py:113:23 @[ attention_bwd.py:240:70 ]
	v_sub_f32_e32 v41, v41, v190
	v_sub_f32_e32 v42, v42, v190
	;; [unrolled: 1-line block ×3, first 2 shown]
.Ltmp165:
	.loc	1 38 36                         ; attention_bwd.py:38:36 @[ attention_bwd.py:184:50 ]
	s_wait_loadcnt 0x0
	s_wait_alu depctr_sa_sdst(0)
	v_or_b32_e32 v45, s6, v49
	s_delay_alu instid0(VALU_DEP_1) | instskip(SKIP_2) | instid1(VALU_DEP_3)
.Ltmp166:
	.loc	1 108 30                        ; attention_bwd.py:108:30 @[ attention_bwd.py:240:70 ]
	v_or_b32_e32 v46, 1, v45
	v_or_b32_e32 v47, 5, v45
	;; [unrolled: 1-line block ×3, first 2 shown]
	.loc	1 110 34                        ; attention_bwd.py:110:34 @[ attention_bwd.py:240:70 ]
	v_cmp_ge_i32_e32 vcc_lo, v152, v46
	.loc	1 108 30                        ; attention_bwd.py:108:30 @[ attention_bwd.py:240:70 ]
	v_or_b32_e32 v46, 2, v45
	s_delay_alu instid0(VALU_DEP_4)
	.loc	1 110 34                        ; attention_bwd.py:110:34 @[ attention_bwd.py:240:70 ]
	v_cmp_ge_i32_e64 s3, v152, v47
	.loc	1 105 25                        ; attention_bwd.py:105:25 @[ attention_bwd.py:240:70 ]
	v_exp_f32_e32 v47, v54
	.loc	1 110 34                        ; attention_bwd.py:110:34 @[ attention_bwd.py:240:70 ]
	v_cmp_ge_i32_e64 s4, v152, v48
	.loc	1 105 25                        ; attention_bwd.py:105:25 @[ attention_bwd.py:240:70 ]
	v_exp_f32_e32 v48, v55
	.loc	1 110 34                        ; attention_bwd.py:110:34 @[ attention_bwd.py:240:70 ]
	v_cmp_ge_i32_e64 s0, v152, v46
	.loc	1 108 30                        ; attention_bwd.py:108:30 @[ attention_bwd.py:240:70 ]
	v_or_b32_e32 v46, 3, v45
	.loc	1 110 34                        ; attention_bwd.py:110:34 @[ attention_bwd.py:240:70 ]
	s_wait_alu depctr_va_vcc(0)
	v_cndmask_b32_e32 v33, 0, v33, vcc_lo
	s_wait_alu depctr_va_sdst(0)
	v_cndmask_b32_e64 v34, 0, v34, s0
	v_cmp_ge_i32_e64 s1, v152, v46
	.loc	1 108 30                        ; attention_bwd.py:108:30 @[ attention_bwd.py:240:70 ]
	v_or_b32_e32 v46, 4, v45
	v_or_b32_e32 v45, 7, v45
	.loc	1 114 19                        ; attention_bwd.py:114:19 @[ attention_bwd.py:240:70 ]
	v_fma_mixlo_f16 v33, v33, v38, 0
	v_fma_mixlo_f16 v34, v34, v39, 0
	.loc	1 110 34                        ; attention_bwd.py:110:34 @[ attention_bwd.py:240:70 ]
	s_wait_alu depctr_va_sdst(0)
	v_cndmask_b32_e64 v35, 0, v35, s1
	v_cmp_ge_i32_e64 s2, v152, v46
	v_cmp_ge_i32_e64 s5, v152, v45
	.loc	1 108 30                        ; attention_bwd.py:108:30 @[ attention_bwd.py:240:70 ]
	v_or_b32_e32 v45, s6, v49
	.loc	1 105 25                        ; attention_bwd.py:105:25 @[ attention_bwd.py:240:70 ]
	v_exp_f32_e32 v46, v53
	.loc	1 110 34                        ; attention_bwd.py:110:34 @[ attention_bwd.py:240:70 ]
	v_cndmask_b32_e64 v38, 0, v47, s4
	s_wait_alu depctr_va_sdst(0)
	v_cndmask_b32_e64 v36, 0, v36, s2
	v_cndmask_b32_e64 v39, 0, v48, s5
	v_cmp_ge_i32_e64 s6, v152, v45
	.loc	1 114 19                        ; attention_bwd.py:114:19 @[ attention_bwd.py:240:70 ]
	v_fma_mixlo_f16 v35, v35, v40, 0
	v_fma_mixlo_f16 v38, v38, v43, 0
	;; [unrolled: 1-line block ×4, first 2 shown]
	.loc	1 110 34                        ; attention_bwd.py:110:34 @[ attention_bwd.py:240:70 ]
	s_wait_alu depctr_va_sdst(0)
	v_cndmask_b32_e64 v32, 0, v32, s6
.Ltmp167:
	.loc	1 245 29                        ; attention_bwd.py:245:29
	s_ashr_i32 s1, s34, 5
	v_readlane_b32 s6, v254, 10
	v_readlane_b32 s7, v254, 11
.Ltmp168:
	.loc	1 101 25                        ; attention_bwd.py:101:25 @[ attention_bwd.py:253:40 ]
	s_wait_alu depctr_sa_sdst(0)
	s_cmp_gt_i32 s1, 0
.Ltmp169:
	.loc	1 114 19                        ; attention_bwd.py:114:19 @[ attention_bwd.py:240:70 ]
	v_fma_mixlo_f16 v32, v32, v37, 0
	.loc	1 110 34                        ; attention_bwd.py:110:34 @[ attention_bwd.py:240:70 ]
	v_cndmask_b32_e64 v37, 0, v46, s3
.Ltmp170:
	.loc	1 101 25                        ; attention_bwd.py:101:25 @[ attention_bwd.py:253:40 ]
	s_cselect_b32 s2, -1, 0
	s_cmp_lt_i32 s1, 1
	s_delay_alu instid0(VALU_DEP_1)
.Ltmp171:
	.loc	1 114 19                        ; attention_bwd.py:114:19 @[ attention_bwd.py:240:70 ]
	v_fma_mixlo_f16 v37, v37, v42, 0
	ds_store_b16 v194, v32 offset:8192
	ds_store_b16 v194, v33 offset:8320
	;; [unrolled: 1-line block ×8, first 2 shown]
	.loc	1 117 25                        ; attention_bwd.py:117:25 @[ attention_bwd.py:240:70 ]
	ds_load_b128 v[37:40], v193
	ds_load_b128 v[41:44], v193 offset:1024
	ds_load_b128 v[45:48], v193 offset:2048
	;; [unrolled: 1-line block ×3, first 2 shown]
	.loc	1 114 19                        ; attention_bwd.py:114:19 @[ attention_bwd.py:240:70 ]
	s_wait_dscnt 0x0
	s_barrier_signal -1
	s_barrier_wait -1
	global_inv scope:SCOPE_SE
.Ltmp172:
	.loc	1 93 36                         ; attention_bwd.py:93:36 @[ attention_bwd.py:253:40 ]
	scratch_load_b32 v32, off, off offset:956 th:TH_LOAD_LU ; 4-byte Folded Reload
.Ltmp173:
	.loc	1 114 19                        ; attention_bwd.py:114:19 @[ attention_bwd.py:240:70 ]
	ds_load_u16 v64, v195 offset:8192
	ds_load_u16 v65, v195 offset:8448
	;; [unrolled: 1-line block ×4, first 2 shown]
	s_wait_dscnt 0x3
	ds_load_u16_d16_hi v64, v195 offset:8320
	s_wait_dscnt 0x3
	ds_load_u16_d16_hi v65, v195 offset:8576
	;; [unrolled: 2-line block ×4, first 2 shown]
	.loc	1 117 25                        ; attention_bwd.py:117:25 @[ attention_bwd.py:240:70 ]
	s_wait_dscnt 0x0
	v_wmma_f32_16x16x16_f16 v[8:15], v[37:40], v[64:67], v[8:15]
	v_wmma_f32_16x16x16_f16 v[16:23], v[41:44], v[64:67], v[16:23]
	;; [unrolled: 1-line block ×4, first 2 shown]
	v_mov_b32_e32 v39, 0
.Ltmp174:
	.loc	1 93 36                         ; attention_bwd.py:93:36 @[ attention_bwd.py:253:40 ]
	s_wait_loadcnt 0x0
	v_mul_lo_u32 v32, s22, v32
	s_delay_alu instid0(VALU_DEP_1) | instskip(NEXT) | instid1(VALU_DEP_1)
	.loc	1 93 18 is_stmt 0               ; attention_bwd.py:93:18 @[ attention_bwd.py:253:40 ]
	v_ashrrev_i32_e32 v33, 31, v32
	v_lshlrev_b64_e32 v[37:38], 1, v[32:33]
	v_mov_b32_e32 v32, 0
	s_delay_alu instid0(VALU_DEP_2) | instskip(SKIP_1) | instid1(VALU_DEP_3)
	v_add_co_u32 v54, vcc_lo, s38, v37
	s_wait_alu depctr_va_vcc(0)
	v_add_co_ci_u32_e64 v55, null, s39, v38, vcc_lo
	.loc	1 102 21 is_stmt 1              ; attention_bwd.py:102:21 @[ attention_bwd.py:253:40 ]
	s_cbranch_scc1 .LBB0_149
; %bb.148:
	.loc	1 93 49                         ; attention_bwd.py:93:49 @[ attention_bwd.py:253:40 ]
	s_lshl_b64 s[4:5], s[10:11], 1
	s_wait_alu depctr_sa_sdst(0)
	v_add_co_u32 v33, vcc_lo, v54, s4
	s_wait_alu depctr_va_vcc(0)
	v_add_co_ci_u32_e64 v34, null, s5, v55, vcc_lo
	.loc	1 102 21                        ; attention_bwd.py:102:21 @[ attention_bwd.py:253:40 ]
	global_load_u16 v39, v[33:34], off
.LBB0_149:
	s_wait_alu depctr_sa_sdst(0)
	v_cndmask_b32_e64 v33, 0, 1, s2
	v_readlane_b32 s68, v253, 8
	v_readlane_b32 s70, v253, 10
	;; [unrolled: 1-line block ×3, first 2 shown]
	s_and_not1_b32 vcc_lo, exec_lo, s2
	v_cmp_ne_u32_e64 s0, 1, v33
	v_readlane_b32 s69, v253, 9
	v_readlane_b32 s72, v253, 12
	s_mov_b64 s[22:23], s[70:71]
	v_readlane_b32 s73, v253, 13
	v_readlane_b32 s74, v253, 14
	;; [unrolled: 1-line block ×3, first 2 shown]
	s_wait_alu depctr_sa_sdst(0)
	s_cbranch_vccnz .LBB0_151
; %bb.150:
	.loc	1 93 49                         ; attention_bwd.py:93:49 @[ attention_bwd.py:253:40 ]
	s_lshl_b64 s[2:3], s[6:7], 1
	s_wait_alu depctr_sa_sdst(0)
	v_add_co_u32 v32, vcc_lo, v54, s2
	s_wait_alu depctr_va_vcc(0)
	v_add_co_ci_u32_e64 v33, null, s3, v55, vcc_lo
	.loc	1 102 21                        ; attention_bwd.py:102:21 @[ attention_bwd.py:253:40 ]
	global_load_u16 v32, v[32:33], off
.LBB0_151:
	.loc	1 0 21 is_stmt 0                ; attention_bwd.py:0:21
	v_dual_mov_b32 v40, 0 :: v_dual_mov_b32 v41, 0
	.loc	1 102 21                        ; attention_bwd.py:102:21 @[ attention_bwd.py:253:40 ]
	s_and_b32 vcc_lo, exec_lo, s0
	s_wait_alu depctr_sa_sdst(0)
	s_cbranch_vccnz .LBB0_153
; %bb.152:
	.loc	1 93 49 is_stmt 1               ; attention_bwd.py:93:49 @[ attention_bwd.py:253:40 ]
	s_lshl_b64 s[2:3], s[8:9], 1
	s_wait_alu depctr_sa_sdst(0)
	v_add_co_u32 v33, vcc_lo, v54, s2
	s_wait_alu depctr_va_vcc(0)
	v_add_co_ci_u32_e64 v34, null, s3, v55, vcc_lo
	.loc	1 102 21                        ; attention_bwd.py:102:21 @[ attention_bwd.py:253:40 ]
	global_load_u16 v41, v[33:34], off
.LBB0_153:
	s_and_b32 vcc_lo, exec_lo, s0
	s_wait_alu depctr_sa_sdst(0)
	s_cbranch_vccnz .LBB0_155
; %bb.154:
	.loc	1 93 49                         ; attention_bwd.py:93:49 @[ attention_bwd.py:253:40 ]
	s_lshl_b64 s[2:3], s[12:13], 1
	s_wait_alu depctr_sa_sdst(0)
	v_add_co_u32 v33, vcc_lo, v54, s2
	s_wait_alu depctr_va_vcc(0)
	v_add_co_ci_u32_e64 v34, null, s3, v55, vcc_lo
	.loc	1 102 21                        ; attention_bwd.py:102:21 @[ attention_bwd.py:253:40 ]
	global_load_u16 v40, v[33:34], off
.LBB0_155:
	.loc	1 0 21 is_stmt 0                ; attention_bwd.py:0:21
	v_dual_mov_b32 v42, 0 :: v_dual_mov_b32 v43, 0
	.loc	1 102 21                        ; attention_bwd.py:102:21 @[ attention_bwd.py:253:40 ]
	s_and_b32 vcc_lo, exec_lo, s0
	s_wait_alu depctr_sa_sdst(0)
	s_cbranch_vccnz .LBB0_157
; %bb.156:
	.loc	1 93 49 is_stmt 1               ; attention_bwd.py:93:49 @[ attention_bwd.py:253:40 ]
	s_lshl_b64 s[2:3], s[14:15], 1
	s_wait_alu depctr_sa_sdst(0)
	v_add_co_u32 v33, vcc_lo, v54, s2
	s_wait_alu depctr_va_vcc(0)
	v_add_co_ci_u32_e64 v34, null, s3, v55, vcc_lo
	.loc	1 102 21                        ; attention_bwd.py:102:21 @[ attention_bwd.py:253:40 ]
	global_load_u16 v43, v[33:34], off
.LBB0_157:
	s_and_b32 vcc_lo, exec_lo, s0
	s_wait_alu depctr_sa_sdst(0)
	s_cbranch_vccnz .LBB0_159
; %bb.158:
	.loc	1 93 49                         ; attention_bwd.py:93:49 @[ attention_bwd.py:253:40 ]
	s_lshl_b64 s[2:3], s[16:17], 1
	s_wait_alu depctr_sa_sdst(0)
	v_add_co_u32 v33, vcc_lo, v54, s2
	s_wait_alu depctr_va_vcc(0)
	v_add_co_ci_u32_e64 v34, null, s3, v55, vcc_lo
	.loc	1 102 21                        ; attention_bwd.py:102:21 @[ attention_bwd.py:253:40 ]
	global_load_u16 v42, v[33:34], off
.LBB0_159:
	.loc	1 0 21 is_stmt 0                ; attention_bwd.py:0:21
	v_dual_mov_b32 v44, 0 :: v_dual_mov_b32 v45, 0
	.loc	1 102 21                        ; attention_bwd.py:102:21 @[ attention_bwd.py:253:40 ]
	s_and_b32 vcc_lo, exec_lo, s0
	s_wait_alu depctr_sa_sdst(0)
	s_cbranch_vccnz .LBB0_161
; %bb.160:
	.loc	1 93 49 is_stmt 1               ; attention_bwd.py:93:49 @[ attention_bwd.py:253:40 ]
	s_lshl_b64 s[2:3], s[18:19], 1
	s_wait_alu depctr_sa_sdst(0)
	v_add_co_u32 v33, vcc_lo, v54, s2
	s_wait_alu depctr_va_vcc(0)
	v_add_co_ci_u32_e64 v34, null, s3, v55, vcc_lo
	.loc	1 102 21                        ; attention_bwd.py:102:21 @[ attention_bwd.py:253:40 ]
	global_load_u16 v45, v[33:34], off
.LBB0_161:
	s_and_b32 vcc_lo, exec_lo, s0
	s_wait_alu depctr_sa_sdst(0)
	s_cbranch_vccnz .LBB0_163
; %bb.162:
	.loc	1 93 49                         ; attention_bwd.py:93:49 @[ attention_bwd.py:253:40 ]
	s_lshl_b64 s[2:3], s[48:49], 1
	s_wait_alu depctr_sa_sdst(0)
	v_add_co_u32 v33, vcc_lo, v54, s2
	s_wait_alu depctr_va_vcc(0)
	v_add_co_ci_u32_e64 v34, null, s3, v55, vcc_lo
	.loc	1 102 21                        ; attention_bwd.py:102:21 @[ attention_bwd.py:253:40 ]
	global_load_u16 v44, v[33:34], off
.LBB0_163:
	.loc	1 0 21 is_stmt 0                ; attention_bwd.py:0:21
	v_dual_mov_b32 v46, 0 :: v_dual_mov_b32 v47, 0
	.loc	1 102 21                        ; attention_bwd.py:102:21 @[ attention_bwd.py:253:40 ]
	s_and_b32 vcc_lo, exec_lo, s0
	s_wait_alu depctr_sa_sdst(0)
	s_cbranch_vccnz .LBB0_165
; %bb.164:
	.loc	1 93 49 is_stmt 1               ; attention_bwd.py:93:49 @[ attention_bwd.py:253:40 ]
	s_lshl_b64 s[2:3], s[50:51], 1
	s_wait_alu depctr_sa_sdst(0)
	v_add_co_u32 v33, vcc_lo, v54, s2
	s_wait_alu depctr_va_vcc(0)
	v_add_co_ci_u32_e64 v34, null, s3, v55, vcc_lo
	.loc	1 102 21                        ; attention_bwd.py:102:21 @[ attention_bwd.py:253:40 ]
	global_load_u16 v47, v[33:34], off
.LBB0_165:
	s_and_b32 vcc_lo, exec_lo, s0
	s_wait_alu depctr_sa_sdst(0)
	s_cbranch_vccnz .LBB0_167
; %bb.166:
	.loc	1 93 49                         ; attention_bwd.py:93:49 @[ attention_bwd.py:253:40 ]
	s_lshl_b64 s[2:3], s[52:53], 1
	s_wait_alu depctr_sa_sdst(0)
	v_add_co_u32 v33, vcc_lo, v54, s2
	s_wait_alu depctr_va_vcc(0)
	v_add_co_ci_u32_e64 v34, null, s3, v55, vcc_lo
	.loc	1 102 21                        ; attention_bwd.py:102:21 @[ attention_bwd.py:253:40 ]
	global_load_u16 v46, v[33:34], off
.LBB0_167:
	.loc	1 0 21 is_stmt 0                ; attention_bwd.py:0:21
	v_dual_mov_b32 v48, 0 :: v_dual_mov_b32 v49, 0
	.loc	1 102 21                        ; attention_bwd.py:102:21 @[ attention_bwd.py:253:40 ]
	s_and_b32 vcc_lo, exec_lo, s0
	s_wait_alu depctr_sa_sdst(0)
	s_cbranch_vccnz .LBB0_169
; %bb.168:
	.loc	1 93 49 is_stmt 1               ; attention_bwd.py:93:49 @[ attention_bwd.py:253:40 ]
	s_lshl_b64 s[2:3], s[54:55], 1
	s_wait_alu depctr_sa_sdst(0)
	v_add_co_u32 v33, vcc_lo, v54, s2
	s_wait_alu depctr_va_vcc(0)
	v_add_co_ci_u32_e64 v34, null, s3, v55, vcc_lo
	.loc	1 102 21                        ; attention_bwd.py:102:21 @[ attention_bwd.py:253:40 ]
	global_load_u16 v49, v[33:34], off
.LBB0_169:
	s_and_b32 vcc_lo, exec_lo, s0
	s_wait_alu depctr_sa_sdst(0)
	s_cbranch_vccnz .LBB0_171
; %bb.170:
	.loc	1 93 49                         ; attention_bwd.py:93:49 @[ attention_bwd.py:253:40 ]
	s_lshl_b64 s[2:3], s[56:57], 1
	s_wait_alu depctr_sa_sdst(0)
	v_add_co_u32 v33, vcc_lo, v54, s2
	s_wait_alu depctr_va_vcc(0)
	v_add_co_ci_u32_e64 v34, null, s3, v55, vcc_lo
	.loc	1 102 21                        ; attention_bwd.py:102:21 @[ attention_bwd.py:253:40 ]
	global_load_u16 v48, v[33:34], off
.LBB0_171:
	.loc	1 0 21 is_stmt 0                ; attention_bwd.py:0:21
	v_dual_mov_b32 v50, 0 :: v_dual_mov_b32 v51, 0
	.loc	1 102 21                        ; attention_bwd.py:102:21 @[ attention_bwd.py:253:40 ]
	s_and_b32 vcc_lo, exec_lo, s0
	s_wait_alu depctr_sa_sdst(0)
	s_cbranch_vccnz .LBB0_173
; %bb.172:
	.loc	1 93 49 is_stmt 1               ; attention_bwd.py:93:49 @[ attention_bwd.py:253:40 ]
	s_lshl_b64 s[2:3], s[58:59], 1
	s_wait_alu depctr_sa_sdst(0)
	v_add_co_u32 v33, vcc_lo, v54, s2
	s_wait_alu depctr_va_vcc(0)
	v_add_co_ci_u32_e64 v34, null, s3, v55, vcc_lo
	.loc	1 102 21                        ; attention_bwd.py:102:21 @[ attention_bwd.py:253:40 ]
	global_load_u16 v51, v[33:34], off
.LBB0_173:
	s_and_b32 vcc_lo, exec_lo, s0
	s_wait_alu depctr_sa_sdst(0)
	s_cbranch_vccnz .LBB0_175
; %bb.174:
	.loc	1 93 49                         ; attention_bwd.py:93:49 @[ attention_bwd.py:253:40 ]
	s_lshl_b64 s[2:3], s[60:61], 1
	s_wait_alu depctr_sa_sdst(0)
	v_add_co_u32 v33, vcc_lo, v54, s2
	s_wait_alu depctr_va_vcc(0)
	v_add_co_ci_u32_e64 v34, null, s3, v55, vcc_lo
	.loc	1 102 21                        ; attention_bwd.py:102:21 @[ attention_bwd.py:253:40 ]
	global_load_u16 v50, v[33:34], off
.LBB0_175:
	.loc	1 0 21 is_stmt 0                ; attention_bwd.py:0:21
	v_dual_mov_b32 v52, 0 :: v_dual_mov_b32 v53, 0
	.loc	1 102 21                        ; attention_bwd.py:102:21 @[ attention_bwd.py:253:40 ]
	s_and_b32 vcc_lo, exec_lo, s0
	s_wait_alu depctr_sa_sdst(0)
	s_cbranch_vccnz .LBB0_177
; %bb.176:
	.loc	1 93 49 is_stmt 1               ; attention_bwd.py:93:49 @[ attention_bwd.py:253:40 ]
	s_lshl_b64 s[2:3], s[64:65], 1
	s_wait_alu depctr_sa_sdst(0)
	v_add_co_u32 v33, vcc_lo, v54, s2
	s_wait_alu depctr_va_vcc(0)
	v_add_co_ci_u32_e64 v34, null, s3, v55, vcc_lo
	.loc	1 102 21                        ; attention_bwd.py:102:21 @[ attention_bwd.py:253:40 ]
	global_load_u16 v53, v[33:34], off
.LBB0_177:
	s_and_b32 vcc_lo, exec_lo, s0
	s_clause 0x3                            ; 64-byte Folded Spill
	scratch_store_b128 off, v[224:227], off offset:304
	scratch_store_b128 off, v[220:223], off offset:288
	;; [unrolled: 1-line block ×4, first 2 shown]
	s_wait_alu depctr_sa_sdst(0)
	s_cbranch_vccnz .LBB0_179
; %bb.178:
	.loc	1 93 49                         ; attention_bwd.py:93:49 @[ attention_bwd.py:253:40 ]
	s_lshl_b64 s[2:3], s[66:67], 1
	s_wait_alu depctr_sa_sdst(0)
	v_add_co_u32 v33, vcc_lo, v54, s2
	s_wait_alu depctr_va_vcc(0)
	v_add_co_ci_u32_e64 v34, null, s3, v55, vcc_lo
	.loc	1 102 21                        ; attention_bwd.py:102:21 @[ attention_bwd.py:253:40 ]
	global_load_u16 v52, v[33:34], off
.LBB0_179:
	.loc	1 94 18                         ; attention_bwd.py:94:18 @[ attention_bwd.py:253:40 ]
	v_add_co_u32 v118, vcc_lo, s36, v37
	s_wait_alu depctr_va_vcc(0)
	v_add_co_ci_u32_e64 v119, null, s37, v38, vcc_lo
	v_dual_mov_b32 v54, 0 :: v_dual_mov_b32 v55, 0
	.loc	1 103 21                        ; attention_bwd.py:103:21 @[ attention_bwd.py:253:40 ]
	s_and_b32 vcc_lo, exec_lo, s0
	s_wait_alu depctr_sa_sdst(0)
	s_cbranch_vccnz .LBB0_181
; %bb.180:
	.loc	1 94 49                         ; attention_bwd.py:94:49 @[ attention_bwd.py:253:40 ]
	s_lshl_b64 s[2:3], s[10:11], 1
	s_wait_alu depctr_sa_sdst(0)
	v_add_co_u32 v33, vcc_lo, v118, s2
	s_wait_alu depctr_va_vcc(0)
	v_add_co_ci_u32_e64 v34, null, s3, v119, vcc_lo
	.loc	1 103 21                        ; attention_bwd.py:103:21 @[ attention_bwd.py:253:40 ]
	global_load_u16 v55, v[33:34], off
.LBB0_181:
	s_and_b32 vcc_lo, exec_lo, s0
	s_wait_alu depctr_sa_sdst(0)
	s_cbranch_vccnz .LBB0_183
; %bb.182:
	.loc	1 94 49                         ; attention_bwd.py:94:49 @[ attention_bwd.py:253:40 ]
	s_lshl_b64 s[2:3], s[6:7], 1
	s_wait_alu depctr_sa_sdst(0)
	v_add_co_u32 v33, vcc_lo, v118, s2
	s_wait_alu depctr_va_vcc(0)
	v_add_co_ci_u32_e64 v34, null, s3, v119, vcc_lo
	.loc	1 103 21                        ; attention_bwd.py:103:21 @[ attention_bwd.py:253:40 ]
	global_load_u16 v54, v[33:34], off
.LBB0_183:
	.loc	1 0 21 is_stmt 0                ; attention_bwd.py:0:21
	v_dual_mov_b32 v116, 0 :: v_dual_mov_b32 v117, 0
	.loc	1 103 21                        ; attention_bwd.py:103:21 @[ attention_bwd.py:253:40 ]
	s_and_b32 vcc_lo, exec_lo, s0
	s_wait_alu depctr_sa_sdst(0)
	s_cbranch_vccnz .LBB0_185
; %bb.184:
	.loc	1 94 49 is_stmt 1               ; attention_bwd.py:94:49 @[ attention_bwd.py:253:40 ]
	s_lshl_b64 s[2:3], s[8:9], 1
	s_wait_alu depctr_sa_sdst(0)
	v_add_co_u32 v33, vcc_lo, v118, s2
	s_wait_alu depctr_va_vcc(0)
	v_add_co_ci_u32_e64 v34, null, s3, v119, vcc_lo
	.loc	1 103 21                        ; attention_bwd.py:103:21 @[ attention_bwd.py:253:40 ]
	global_load_u16 v117, v[33:34], off
.LBB0_185:
	s_and_b32 vcc_lo, exec_lo, s0
	s_wait_alu depctr_sa_sdst(0)
	s_cbranch_vccnz .LBB0_187
; %bb.186:
	.loc	1 94 49                         ; attention_bwd.py:94:49 @[ attention_bwd.py:253:40 ]
	s_lshl_b64 s[2:3], s[12:13], 1
	s_wait_alu depctr_sa_sdst(0)
	v_add_co_u32 v33, vcc_lo, v118, s2
	s_wait_alu depctr_va_vcc(0)
	v_add_co_ci_u32_e64 v34, null, s3, v119, vcc_lo
	.loc	1 103 21                        ; attention_bwd.py:103:21 @[ attention_bwd.py:253:40 ]
	global_load_u16 v116, v[33:34], off
.LBB0_187:
	.loc	1 0 21 is_stmt 0                ; attention_bwd.py:0:21
	v_dual_mov_b32 v120, 0 :: v_dual_mov_b32 v121, 0
	.loc	1 103 21                        ; attention_bwd.py:103:21 @[ attention_bwd.py:253:40 ]
	s_and_b32 vcc_lo, exec_lo, s0
	s_wait_alu depctr_sa_sdst(0)
	s_cbranch_vccnz .LBB0_189
; %bb.188:
	.loc	1 94 49 is_stmt 1               ; attention_bwd.py:94:49 @[ attention_bwd.py:253:40 ]
	s_lshl_b64 s[2:3], s[14:15], 1
	s_wait_alu depctr_sa_sdst(0)
	v_add_co_u32 v33, vcc_lo, v118, s2
	s_wait_alu depctr_va_vcc(0)
	v_add_co_ci_u32_e64 v34, null, s3, v119, vcc_lo
	.loc	1 103 21                        ; attention_bwd.py:103:21 @[ attention_bwd.py:253:40 ]
	global_load_u16 v121, v[33:34], off
.LBB0_189:
	;; [unrolled: 29-line block ×7, first 2 shown]
	s_and_b32 vcc_lo, exec_lo, s0
	s_wait_alu depctr_sa_sdst(0)
	s_cbranch_vccnz .LBB0_211
; %bb.210:
	.loc	1 94 49                         ; attention_bwd.py:94:49 @[ attention_bwd.py:253:40 ]
	s_lshl_b64 s[2:3], s[66:67], 1
	s_wait_alu depctr_sa_sdst(0)
	v_add_co_u32 v33, vcc_lo, v118, s2
	s_wait_alu depctr_va_vcc(0)
	v_add_co_ci_u32_e64 v34, null, s3, v119, vcc_lo
	.loc	1 103 21                        ; attention_bwd.py:103:21 @[ attention_bwd.py:253:40 ]
	global_load_u16 v130, v[33:34], off
.LBB0_211:
	.loc	1 102 21                        ; attention_bwd.py:102:21 @[ attention_bwd.py:253:40 ]
	s_wait_loadcnt 0x0
	ds_store_b16 v252, v39
	ds_store_b16 v252, v32 offset:512
	ds_store_b16 v252, v41 offset:1024
	;; [unrolled: 1-line block ×15, first 2 shown]
	.loc	1 103 21                        ; attention_bwd.py:103:21 @[ attention_bwd.py:253:40 ]
	s_wait_storecnt_dscnt 0x0
	s_barrier_signal -1
	.loc	1 101 25                        ; attention_bwd.py:101:25 @[ attention_bwd.py:253:40 ]
	s_cmp_lt_i32 s1, 2
	.loc	1 103 21                        ; attention_bwd.py:103:21 @[ attention_bwd.py:253:40 ]
	s_barrier_wait -1
	global_inv scope:SCOPE_SE
	ds_store_b16 v252, v55 offset:8192
	ds_store_b16 v252, v54 offset:8704
	;; [unrolled: 1-line block ×16, first 2 shown]
	.loc	1 101 25                        ; attention_bwd.py:101:25 @[ attention_bwd.py:253:40 ]
	s_cbranch_scc1 .LBB0_215
; %bb.212:                              ; %.lr.ph1075
	.loc	1 0 25 is_stmt 0                ; attention_bwd.py:0:25
	s_clause 0x7                            ; 128-byte Folded Spill
	scratch_store_b128 off, v[161:164], off offset:416
	scratch_store_b128 off, v[157:160], off offset:432
	;; [unrolled: 1-line block ×8, first 2 shown]
	s_clause 0x4                            ; 80-byte Folded Reload
	scratch_load_b128 v[172:175], off, off offset:464
	scratch_load_b128 v[104:107], off, off offset:384
	;; [unrolled: 1-line block ×5, first 2 shown]
	v_readlane_b32 s2, v253, 6
	v_readlane_b32 s3, v253, 7
	.loc	1 101 25                        ; attention_bwd.py:101:25 @[ attention_bwd.py:253:40 ]
	s_lshl_b64 s[4:5], s[66:67], 1
	s_clause 0x10                           ; 136-byte Folded Spill
	scratch_store_b64 off, v[204:205], off offset:736
	scratch_store_b64 off, v[188:189], off offset:728
	;; [unrolled: 1-line block ×17, first 2 shown]
	s_add_co_i32 s1, s1, -1
	s_ashr_i32 s3, s2, 31
	s_wait_alu depctr_sa_sdst(0)
	s_lshl_b64 s[2:3], s[2:3], 1
	s_wait_alu depctr_sa_sdst(0)
	s_add_nc_u64 s[4:5], s[2:3], s[4:5]
	s_wait_alu depctr_sa_sdst(0)
	v_add_co_u32 v33, vcc_lo, s4, v37
	s_wait_alu depctr_va_vcc(0)
	v_add_co_ci_u32_e64 v34, null, s5, v38, vcc_lo
	s_lshl_b64 s[4:5], s[64:65], 1
	v_add_co_u32 v32, vcc_lo, s28, v33
	s_wait_alu depctr_sa_sdst(0)
	s_add_nc_u64 s[4:5], s[2:3], s[4:5]
	s_wait_alu depctr_va_vcc(0)
	v_add_co_ci_u32_e64 v53, null, s29, v34, vcc_lo
	s_wait_alu depctr_sa_sdst(0)
	v_add_co_u32 v35, vcc_lo, s4, v37
	s_wait_alu depctr_va_vcc(0)
	v_add_co_ci_u32_e64 v36, null, s5, v38, vcc_lo
	s_lshl_b64 s[4:5], s[60:61], 1
	v_add_co_u32 v54, vcc_lo, s28, v35
	s_wait_alu depctr_sa_sdst(0)
	s_add_nc_u64 s[4:5], s[2:3], s[4:5]
	s_wait_alu depctr_va_vcc(0)
	v_add_co_ci_u32_e64 v55, null, s29, v36, vcc_lo
	;; [unrolled: 10-line block ×14, first 2 shown]
	s_lshl_b64 s[6:7], s[10:11], 1
	s_wait_alu depctr_sa_sdst(0)
	v_add_co_u32 v66, vcc_lo, s4, v37
	s_wait_alu depctr_va_vcc(0)
	v_add_co_ci_u32_e64 v67, null, s5, v38, vcc_lo
	s_add_nc_u64 s[4:5], s[2:3], s[6:7]
	s_wait_alu depctr_sa_sdst(0)
	v_add_co_u32 v37, vcc_lo, s4, v37
	s_wait_alu depctr_va_vcc(0)
	v_add_co_ci_u32_e64 v38, null, s5, v38, vcc_lo
	v_add_co_u32 v228, vcc_lo, s28, v66
	s_wait_alu depctr_va_vcc(0)
	v_add_co_ci_u32_e64 v229, null, s29, v67, vcc_lo
	v_add_co_u32 v230, vcc_lo, s28, v37
	s_wait_alu depctr_va_vcc(0)
	v_add_co_ci_u32_e64 v231, null, s29, v38, vcc_lo
	v_add_co_u32 v232, vcc_lo, s26, v33
	s_wait_alu depctr_va_vcc(0)
	v_add_co_ci_u32_e64 v233, null, s27, v34, vcc_lo
	v_add_co_u32 v234, vcc_lo, s26, v35
	s_wait_alu depctr_va_vcc(0)
	v_add_co_ci_u32_e64 v235, null, s27, v36, vcc_lo
	v_add_co_u32 v236, vcc_lo, s26, v39
	s_wait_alu depctr_va_vcc(0)
	v_add_co_ci_u32_e64 v237, null, s27, v40, vcc_lo
	v_add_co_u32 v238, vcc_lo, s26, v41
	s_wait_alu depctr_va_vcc(0)
	v_add_co_ci_u32_e64 v239, null, s27, v42, vcc_lo
	v_add_co_u32 v240, vcc_lo, s26, v43
	s_wait_alu depctr_va_vcc(0)
	v_add_co_ci_u32_e64 v241, null, s27, v44, vcc_lo
	v_add_co_u32 v242, vcc_lo, s26, v45
	s_wait_alu depctr_va_vcc(0)
	v_add_co_ci_u32_e64 v243, null, s27, v46, vcc_lo
	v_add_co_u32 v244, vcc_lo, s26, v47
	s_wait_alu depctr_va_vcc(0)
	v_add_co_ci_u32_e64 v245, null, s27, v48, vcc_lo
	v_add_co_u32 v246, vcc_lo, s26, v49
	s_wait_alu depctr_va_vcc(0)
	v_add_co_ci_u32_e64 v247, null, s27, v50, vcc_lo
	v_add_co_u32 v248, vcc_lo, s26, v51
	s_wait_alu depctr_va_vcc(0)
	v_add_co_ci_u32_e64 v249, null, s27, v52, vcc_lo
	v_add_co_u32 v250, vcc_lo, s26, v56
	s_wait_alu depctr_va_vcc(0)
	v_add_co_ci_u32_e64 v251, null, s27, v57, vcc_lo
	v_add_co_u32 v132, vcc_lo, s26, v58
	s_wait_alu depctr_va_vcc(0)
	v_add_co_ci_u32_e64 v133, null, s27, v59, vcc_lo
	v_add_co_u32 v134, vcc_lo, s26, v60
	s_wait_alu depctr_va_vcc(0)
	v_add_co_ci_u32_e64 v135, null, s27, v61, vcc_lo
	v_add_co_u32 v136, vcc_lo, s26, v62
	s_wait_alu depctr_va_vcc(0)
	v_add_co_ci_u32_e64 v137, null, s27, v63, vcc_lo
	v_add_co_u32 v138, vcc_lo, s26, v64
	s_wait_alu depctr_va_vcc(0)
	v_add_co_ci_u32_e64 v139, null, s27, v65, vcc_lo
	v_add_co_u32 v140, vcc_lo, s26, v66
	s_wait_alu depctr_va_vcc(0)
	v_add_co_ci_u32_e64 v141, null, s27, v67, vcc_lo
	v_add_co_u32 v142, vcc_lo, s26, v37
	s_wait_alu depctr_va_vcc(0)
	v_add_co_ci_u32_e64 v143, null, s27, v38, vcc_lo
.LBB0_213:                              ; =>This Inner Loop Header: Depth=1
	.loc	1 0 25                          ; attention_bwd.py:0:25
	s_delay_alu instid0(VALU_DEP_2) | instskip(SKIP_1) | instid1(VALU_DEP_2)
	.loc	1 120 19 is_stmt 1              ; attention_bwd.py:120:19 @[ attention_bwd.py:253:40 ]
	v_add_co_u32 v33, vcc_lo, v142, s20
	s_wait_alu depctr_va_vcc(0)
	v_add_co_ci_u32_e64 v34, null, s21, v143, vcc_lo
	.loc	1 101 25                        ; attention_bwd.py:101:25 @[ attention_bwd.py:253:40 ]
	s_add_co_i32 s1, s1, -1
	v_mov_b32_e32 v115, v90
	s_wait_alu depctr_sa_sdst(0)
	s_cmp_lg_u32 s1, 0
	.loc	1 102 21                        ; attention_bwd.py:102:21 @[ attention_bwd.py:253:40 ]
	global_load_u16 v33, v[33:34], off
	v_dual_mov_b32 v114, v89 :: v_dual_mov_b32 v113, v88
	v_mov_b32_e32 v112, v87
	.loc	1 120 19                        ; attention_bwd.py:120:19 @[ attention_bwd.py:253:40 ]
	s_wait_loadcnt 0x0
	scratch_store_b32 off, v33, off offset:48 ; 4-byte Folded Spill
	v_add_co_u32 v33, vcc_lo, v140, s20
	s_wait_alu depctr_va_vcc(0)
	v_add_co_ci_u32_e64 v34, null, s21, v141, vcc_lo
	.loc	1 102 21                        ; attention_bwd.py:102:21 @[ attention_bwd.py:253:40 ]
	global_load_u16 v33, v[33:34], off
	.loc	1 120 19                        ; attention_bwd.py:120:19 @[ attention_bwd.py:253:40 ]
	s_wait_loadcnt 0x0
	scratch_store_b32 off, v33, off offset:64 ; 4-byte Folded Spill
	v_add_co_u32 v33, vcc_lo, v138, s20
	s_wait_alu depctr_va_vcc(0)
	v_add_co_ci_u32_e64 v34, null, s21, v139, vcc_lo
	.loc	1 102 21                        ; attention_bwd.py:102:21 @[ attention_bwd.py:253:40 ]
	global_load_u16 v33, v[33:34], off
	;; [unrolled: 8-line block ×7, first 2 shown]
	.loc	1 120 19                        ; attention_bwd.py:120:19 @[ attention_bwd.py:253:40 ]
	v_add_co_u32 v33, vcc_lo, v246, s20
	s_wait_alu depctr_va_vcc(0)
	v_add_co_ci_u32_e64 v34, null, s21, v247, vcc_lo
	.loc	1 102 21                        ; attention_bwd.py:102:21 @[ attention_bwd.py:253:40 ]
	global_load_u16 v33, v[33:34], off
	.loc	1 120 19                        ; attention_bwd.py:120:19 @[ attention_bwd.py:253:40 ]
	s_wait_loadcnt 0x0
	scratch_store_b32 off, v33, off offset:208 ; 4-byte Folded Spill
	v_add_co_u32 v33, vcc_lo, v244, s20
	s_wait_alu depctr_va_vcc(0)
	v_add_co_ci_u32_e64 v34, null, s21, v245, vcc_lo
	.loc	1 102 21                        ; attention_bwd.py:102:21 @[ attention_bwd.py:253:40 ]
	global_load_u16 v145, v[33:34], off
	.loc	1 120 19                        ; attention_bwd.py:120:19 @[ attention_bwd.py:253:40 ]
	v_add_co_u32 v33, vcc_lo, v242, s20
	s_wait_alu depctr_va_vcc(0)
	v_add_co_ci_u32_e64 v34, null, s21, v243, vcc_lo
	.loc	1 102 21                        ; attention_bwd.py:102:21 @[ attention_bwd.py:253:40 ]
	global_load_u16 v204, v[33:34], off
	.loc	1 120 19                        ; attention_bwd.py:120:19 @[ attention_bwd.py:253:40 ]
	;; [unrolled: 6-line block ×3, first 2 shown]
	s_wait_loadcnt 0x0
	scratch_store_b32 off, v33, off offset:240 ; 4-byte Folded Spill
	v_add_co_u32 v33, vcc_lo, v238, s20
	s_wait_alu depctr_va_vcc(0)
	v_add_co_ci_u32_e64 v34, null, s21, v239, vcc_lo
	.loc	1 102 21                        ; attention_bwd.py:102:21 @[ attention_bwd.py:253:40 ]
	global_load_u16 v33, v[33:34], off
	.loc	1 120 19                        ; attention_bwd.py:120:19 @[ attention_bwd.py:253:40 ]
	s_wait_loadcnt 0x0
	scratch_store_b32 off, v33, off offset:272 ; 4-byte Folded Spill
	v_add_co_u32 v33, vcc_lo, v236, s20
	s_wait_alu depctr_va_vcc(0)
	v_add_co_ci_u32_e64 v34, null, s21, v237, vcc_lo
	.loc	1 102 21                        ; attention_bwd.py:102:21 @[ attention_bwd.py:253:40 ]
	global_load_u16 v205, v[33:34], off
	.loc	1 120 19                        ; attention_bwd.py:120:19 @[ attention_bwd.py:253:40 ]
	v_add_co_u32 v33, vcc_lo, v234, s20
	s_wait_alu depctr_va_vcc(0)
	v_add_co_ci_u32_e64 v34, null, s21, v235, vcc_lo
	.loc	1 102 21                        ; attention_bwd.py:102:21 @[ attention_bwd.py:253:40 ]
	global_load_u16 v158, v[33:34], off
	.loc	1 121 19                        ; attention_bwd.py:121:19 @[ attention_bwd.py:253:40 ]
	;; [unrolled: 6-line block ×3, first 2 shown]
	s_wait_storecnt 0x0
	s_wait_loadcnt_dscnt 0x0
	s_barrier_signal -1
	s_barrier_wait -1
	global_inv scope:SCOPE_SE
	s_clause 0x6                            ; 112-byte Folded Reload
	scratch_load_b128 v[95:98], off, off offset:304
	scratch_load_b128 v[60:63], off, off offset:320
	;; [unrolled: 1-line block ×3, first 2 shown]
	scratch_load_b128 v[76:79], off, off
	scratch_load_b128 v[80:83], off, off offset:336
	scratch_load_b128 v[33:36], off, off offset:352
	scratch_load_b128 v[56:59], off, off offset:400
	.loc	1 102 21                        ; attention_bwd.py:102:21 @[ attention_bwd.py:253:40 ]
	ds_load_u16 v37, v203
	ds_load_u16 v38, v203 offset:128
	ds_load_u16 v39, v203 offset:256
	ds_load_u16 v40, v203 offset:384
	ds_load_u16 v43, v203 offset:1280
	ds_load_u16 v41, v203 offset:1024
	ds_load_u16 v44, v203 offset:1408
	ds_load_u16 v64, v203 offset:2048
	ds_load_u16 v65, v203 offset:2176
	ds_load_u16 v66, v203 offset:2304
	ds_load_u16 v68, v203 offset:3072
	ds_load_u16 v118, v203 offset:2336
	ds_load_u16 v117, v203 offset:2208
	ds_load_u16 v42, v203 offset:1152
	ds_load_u16 v120, v203 offset:1056
	s_wait_dscnt 0x1
	ds_load_u16_d16_hi v42, v203 offset:1216
	s_wait_dscnt 0x1
	ds_load_u16_d16_hi v120, v203 offset:1120
	ds_load_u16 v127, v203 offset:416
	ds_load_u16 v124, v203 offset:32
	ds_load_u16_d16_hi v37, v203 offset:64
	ds_load_u16_d16_hi v38, v203 offset:192
	ds_load_u16 v126, v203 offset:288
	ds_load_u16 v125, v203 offset:160
	ds_load_u16_d16_hi v39, v203 offset:320
	ds_load_u16_d16_hi v40, v203 offset:448
	;; [unrolled: 1-line block ×3, first 2 shown]
	ds_load_u16 v121, v203 offset:1184
	ds_load_u16_d16_hi v118, v203 offset:2400
	ds_load_u16_d16_hi v43, v203 offset:1344
	;; [unrolled: 1-line block ×3, first 2 shown]
	ds_load_u16 v116, v203 offset:2080
	ds_load_u16 v123, v203 offset:1440
	;; [unrolled: 1-line block ×4, first 2 shown]
	ds_load_u16_d16_hi v64, v203 offset:2112
	ds_load_u16_d16_hi v65, v203 offset:2240
	;; [unrolled: 1-line block ×3, first 2 shown]
	s_wait_dscnt 0x3
	ds_load_u16_d16_hi v67, v203 offset:2496
	ds_load_u16 v119, v203 offset:2464
	ds_load_u16_d16_hi v117, v203 offset:2272
	ds_load_u16_d16_hi v121, v203 offset:1248
	;; [unrolled: 1-line block ×9, first 2 shown]
	s_wait_dscnt 0x9
	ds_load_u16_d16_hi v119, v203 offset:2528
	.loc	1 104 23                        ; attention_bwd.py:104:23 @[ attention_bwd.py:253:40 ]
	s_wait_loadcnt 0x6
	v_wmma_f32_16x16x16_f16 v[45:52], v[37:40], v[95:98], 0
	s_wait_loadcnt 0x4
	s_delay_alu instid0(VALU_DEP_1) | instskip(SKIP_1) | instid1(VALU_DEP_1)
	v_wmma_f32_16x16x16_f16 v[45:52], v[41:44], v[99:102], v[45:52]
	s_wait_loadcnt 0x2
	v_wmma_f32_16x16x16_f16 v[45:52], v[64:67], v[80:83], v[45:52]
	.loc	1 102 21                        ; attention_bwd.py:102:21 @[ attention_bwd.py:253:40 ]
	ds_load_u16 v70, v203 offset:3328
	ds_load_u16 v71, v203 offset:3456
	;; [unrolled: 1-line block ×3, first 2 shown]
	s_wait_dscnt 0x0
	ds_load_u16_d16_hi v64, v203 offset:4192
	ds_load_u16 v37, v203 offset:4096
	ds_load_u16 v69, v203 offset:3200
	ds_load_u16_d16_hi v68, v203 offset:3136
	ds_load_u16_d16_hi v70, v203 offset:3392
	;; [unrolled: 1-line block ×3, first 2 shown]
	ds_load_u16 v65, v203 offset:4256
	ds_load_u16 v131, v203 offset:3488
	;; [unrolled: 1-line block ×5, first 2 shown]
	s_wait_dscnt 0x8
	ds_load_u16_d16_hi v69, v203 offset:3264
	s_wait_dscnt 0x4
	ds_load_u16_d16_hi v131, v203 offset:3552
	;; [unrolled: 2-line block ×5, first 2 shown]
	.loc	1 104 23                        ; attention_bwd.py:104:23 @[ attention_bwd.py:253:40 ]
	s_wait_dscnt 0x4
	v_wmma_f32_16x16x16_f16 v[45:52], v[68:71], v[60:63], v[45:52]
	.loc	1 102 21                        ; attention_bwd.py:102:21 @[ attention_bwd.py:253:40 ]
	ds_load_u16 v39, v203 offset:4352
	ds_load_u16 v38, v203 offset:4224
	;; [unrolled: 1-line block ×9, first 2 shown]
	ds_load_u16_d16_hi v37, v203 offset:4160
	s_wait_dscnt 0x8
	ds_load_u16_d16_hi v38, v203 offset:4288
	s_wait_dscnt 0x3
	ds_load_u16_d16_hi v162, v203 offset:5472
	ds_load_u16_d16_hi v39, v203 offset:4416
	;; [unrolled: 1-line block ×3, first 2 shown]
	ds_load_u16 v160, v203 offset:5152
	ds_load_u16 v67, v203 offset:4512
	;; [unrolled: 1-line block ×4, first 2 shown]
	ds_load_u16_d16_hi v41, v203 offset:5184
	ds_load_u16_d16_hi v42, v203 offset:5312
	;; [unrolled: 1-line block ×3, first 2 shown]
	s_wait_dscnt 0x3
	ds_load_u16_d16_hi v44, v203 offset:5568
	ds_load_u16 v163, v203 offset:5536
	ds_load_u16_d16_hi v161, v203 offset:5344
	ds_load_u16_d16_hi v65, v203 offset:4320
	;; [unrolled: 1-line block ×5, first 2 shown]
	.loc	1 104 23                        ; attention_bwd.py:104:23 @[ attention_bwd.py:253:40 ]
	s_wait_loadcnt 0x1
	v_wmma_f32_16x16x16_f16 v[45:52], v[37:40], v[33:36], v[45:52]
	.loc	1 102 21                        ; attention_bwd.py:102:21 @[ attention_bwd.py:253:40 ]
	ds_load_u16 v70, v203 offset:6400
	ds_load_u16 v71, v203 offset:6528
	;; [unrolled: 1-line block ×5, first 2 shown]
	s_wait_dscnt 0x0
	ds_load_u16_d16_hi v164, v203 offset:7264
	ds_load_u16 v69, v203 offset:6272
	ds_load_u16_d16_hi v68, v203 offset:6208
	ds_load_u16_d16_hi v70, v203 offset:6464
	;; [unrolled: 1-line block ×3, first 2 shown]
	ds_load_u16 v165, v203 offset:7328
	ds_load_u16 v171, v203 offset:6560
	;; [unrolled: 1-line block ×7, first 2 shown]
	ds_load_u16_d16_hi v37, v203 offset:7232
	s_wait_dscnt 0xb
	ds_load_u16_d16_hi v69, v203 offset:6336
	s_wait_dscnt 0x7
	;; [unrolled: 2-line block ×6, first 2 shown]
	ds_load_u16_d16_hi v38, v203 offset:7360
	ds_load_u16_d16_hi v39, v203 offset:7488
	s_wait_dscnt 0x8
	ds_load_u16_d16_hi v40, v203 offset:7616
	ds_load_u16 v166, v203 offset:7456
	ds_load_u16 v167, v203 offset:7584
	.loc	1 104 23                        ; attention_bwd.py:104:23 @[ attention_bwd.py:253:40 ]
	s_wait_loadcnt 0x0
	v_wmma_f32_16x16x16_f16 v[45:52], v[41:44], v[56:59], v[45:52]
	.loc	1 102 21                        ; attention_bwd.py:102:21 @[ attention_bwd.py:253:40 ]
	ds_load_u16_d16_hi v163, v203 offset:5600
	ds_load_u16_d16_hi v165, v203 offset:7392
	s_wait_dscnt 0x3
	ds_load_u16_d16_hi v166, v203 offset:7520
	s_wait_dscnt 0x3
	ds_load_u16_d16_hi v167, v203 offset:7648
	.loc	1 104 23                        ; attention_bwd.py:104:23 @[ attention_bwd.py:253:40 ]
	v_wmma_f32_16x16x16_f16 v[45:52], v[68:71], v[76:79], v[45:52]
	s_delay_alu instid0(VALU_DEP_1) | instskip(SKIP_1) | instid1(VALU_DEP_2)
	v_wmma_f32_16x16x16_f16 v[45:52], v[37:40], v[72:75], v[45:52]
	v_wmma_f32_16x16x16_f16 v[37:44], v[124:127], v[95:98], 0
	.loc	1 105 30                        ; attention_bwd.py:105:30 @[ attention_bwd.py:253:40 ]
	v_sub_f32_e32 v207, v45, v192
	s_delay_alu instid0(VALU_DEP_2) | instskip(NEXT) | instid1(VALU_DEP_4)
	.loc	1 104 23                        ; attention_bwd.py:104:23 @[ attention_bwd.py:253:40 ]
	v_wmma_f32_16x16x16_f16 v[37:44], v[120:123], v[99:102], v[37:44]
	.loc	1 105 30                        ; attention_bwd.py:105:30 @[ attention_bwd.py:253:40 ]
	v_sub_f32_e32 v206, v46, v192
	v_sub_f32_e32 v189, v47, v192
	;; [unrolled: 1-line block ×4, first 2 shown]
	.loc	1 104 23                        ; attention_bwd.py:104:23 @[ attention_bwd.py:253:40 ]
	v_wmma_f32_16x16x16_f16 v[37:44], v[116:119], v[80:83], v[37:44]
	.loc	1 105 30                        ; attention_bwd.py:105:30 @[ attention_bwd.py:253:40 ]
	v_sub_f32_e32 v186, v50, v192
	v_sub_f32_e32 v185, v51, v192
	v_dual_sub_f32 v184, v52, v192 :: v_dual_mov_b32 v99, v94
	s_delay_alu instid0(VALU_DEP_4) | instskip(SKIP_2) | instid1(VALU_DEP_3)
	.loc	1 104 23                        ; attention_bwd.py:104:23 @[ attention_bwd.py:253:40 ]
	v_wmma_f32_16x16x16_f16 v[37:44], v[128:131], v[60:63], v[37:44]
	v_dual_mov_b32 v98, v93 :: v_dual_mov_b32 v97, v92
	v_mov_b32_e32 v96, v91
	v_wmma_f32_16x16x16_f16 v[37:44], v[64:67], v[33:36], v[37:44]
	.loc	1 121 19                        ; attention_bwd.py:121:19 @[ attention_bwd.py:253:40 ]
	v_add_co_u32 v33, vcc_lo, v230, s20
	s_wait_alu depctr_va_vcc(0)
	v_add_co_ci_u32_e64 v34, null, s21, v231, vcc_lo
	.loc	1 104 23                        ; attention_bwd.py:104:23 @[ attention_bwd.py:253:40 ]
	s_wait_dscnt 0x3
	v_wmma_f32_16x16x16_f16 v[37:44], v[160:163], v[56:59], v[37:44]
	.loc	1 103 21                        ; attention_bwd.py:103:21 @[ attention_bwd.py:253:40 ]
	global_load_u16 v160, v[33:34], off
	.loc	1 121 19                        ; attention_bwd.py:121:19 @[ attention_bwd.py:253:40 ]
	v_add_co_u32 v33, vcc_lo, v228, s20
	s_wait_alu depctr_va_vcc(0)
	v_add_co_ci_u32_e64 v34, null, s21, v229, vcc_lo
	.loc	1 104 23                        ; attention_bwd.py:104:23 @[ attention_bwd.py:253:40 ]
	v_wmma_f32_16x16x16_f16 v[37:44], v[168:171], v[76:79], v[37:44]
	.loc	1 103 21                        ; attention_bwd.py:103:21 @[ attention_bwd.py:253:40 ]
	global_load_u16 v161, v[33:34], off
	.loc	1 121 19                        ; attention_bwd.py:121:19 @[ attention_bwd.py:253:40 ]
	v_add_co_u32 v33, vcc_lo, v226, s20
	s_wait_alu depctr_va_vcc(0)
	v_add_co_ci_u32_e64 v34, null, s21, v227, vcc_lo
	.loc	1 104 23                        ; attention_bwd.py:104:23 @[ attention_bwd.py:253:40 ]
	s_wait_dscnt 0x0
	v_wmma_f32_16x16x16_f16 v[37:44], v[164:167], v[72:75], v[37:44]
	.loc	1 103 21                        ; attention_bwd.py:103:21 @[ attention_bwd.py:253:40 ]
	global_load_u16 v162, v[33:34], off
	.loc	1 121 19                        ; attention_bwd.py:121:19 @[ attention_bwd.py:253:40 ]
	v_add_co_u32 v33, vcc_lo, v224, s20
	s_wait_alu depctr_va_vcc(0)
	v_add_co_ci_u32_e64 v34, null, s21, v225, vcc_lo
	.loc	1 105 30                        ; attention_bwd.py:105:30 @[ attention_bwd.py:253:40 ]
	v_sub_f32_e32 v183, v37, v192
	v_sub_f32_e32 v182, v38, v192
	v_sub_f32_e32 v181, v39, v192
	.loc	1 103 21                        ; attention_bwd.py:103:21 @[ attention_bwd.py:253:40 ]
	global_load_u16 v163, v[33:34], off
	.loc	1 121 19                        ; attention_bwd.py:121:19 @[ attention_bwd.py:253:40 ]
	v_add_co_u32 v33, vcc_lo, v222, s20
	s_wait_alu depctr_va_vcc(0)
	v_add_co_ci_u32_e64 v34, null, s21, v223, vcc_lo
	.loc	1 105 30                        ; attention_bwd.py:105:30 @[ attention_bwd.py:253:40 ]
	v_sub_f32_e32 v180, v40, v192
	v_sub_f32_e32 v179, v41, v192
	;; [unrolled: 1-line block ×3, first 2 shown]
	.loc	1 103 21                        ; attention_bwd.py:103:21 @[ attention_bwd.py:253:40 ]
	global_load_u16 v164, v[33:34], off
	.loc	1 121 19                        ; attention_bwd.py:121:19 @[ attention_bwd.py:253:40 ]
	v_add_co_u32 v33, vcc_lo, v220, s20
	s_wait_alu depctr_va_vcc(0)
	v_add_co_ci_u32_e64 v34, null, s21, v221, vcc_lo
	.loc	1 105 30                        ; attention_bwd.py:105:30 @[ attention_bwd.py:253:40 ]
	v_sub_f32_e32 v177, v43, v192
	v_sub_f32_e32 v176, v44, v192
	.loc	1 117 25                        ; attention_bwd.py:117:25 @[ attention_bwd.py:253:40 ]
	ds_load_b128 v[116:119], v202
	ds_load_b128 v[37:40], v202 offset:32
	ds_load_b128 v[120:123], v202 offset:2048
	;; [unrolled: 1-line block ×7, first 2 shown]
	.loc	1 103 21                        ; attention_bwd.py:103:21 @[ attention_bwd.py:253:40 ]
	global_load_u16 v165, v[33:34], off
	.loc	1 121 19                        ; attention_bwd.py:121:19 @[ attention_bwd.py:253:40 ]
	v_add_co_u32 v33, vcc_lo, v218, s20
	s_wait_alu depctr_va_vcc(0)
	v_add_co_ci_u32_e64 v34, null, s21, v219, vcc_lo
	.loc	1 103 21                        ; attention_bwd.py:103:21 @[ attention_bwd.py:253:40 ]
	global_load_u16 v166, v[33:34], off
	.loc	1 121 19                        ; attention_bwd.py:121:19 @[ attention_bwd.py:253:40 ]
	v_add_co_u32 v33, vcc_lo, v216, s20
	s_wait_alu depctr_va_vcc(0)
	v_add_co_ci_u32_e64 v34, null, s21, v217, vcc_lo
	;; [unrolled: 6-line block ×10, first 2 shown]
	.loc	1 101 25                        ; attention_bwd.py:101:25 @[ attention_bwd.py:253:40 ]
	v_add_co_u32 v32, vcc_lo, v32, s2
	s_wait_alu depctr_va_vcc(0)
	v_add_co_ci_u32_e64 v53, null, s3, v53, vcc_lo
	.loc	1 103 21                        ; attention_bwd.py:103:21 @[ attention_bwd.py:253:40 ]
	global_load_u16 v157, v[33:34], off
	.loc	1 101 25                        ; attention_bwd.py:101:25 @[ attention_bwd.py:253:40 ]
	v_add_co_u32 v54, vcc_lo, v54, s2
	s_wait_alu depctr_va_vcc(0)
	v_add_co_ci_u32_e64 v55, null, s3, v55, vcc_lo
	v_add_co_u32 v191, vcc_lo, v191, s2
	s_wait_alu depctr_va_vcc(0)
	v_add_co_ci_u32_e64 v193, null, s3, v193, vcc_lo
	;; [unrolled: 3-line block ×31, first 2 shown]
	.loc	1 103 21                        ; attention_bwd.py:103:21 @[ attention_bwd.py:253:40 ]
	s_wait_loadcnt_dscnt 0x0
	s_barrier_signal -1
	s_barrier_wait -1
	global_inv scope:SCOPE_SE
	scratch_load_b128 v[100:103], off, off offset:448 ; 16-byte Folded Reload
	ds_load_u16 v197, v203 offset:8320
	ds_load_u16 v196, v203 offset:8192
	;; [unrolled: 1-line block ×15, first 2 shown]
	s_wait_dscnt 0x1
	ds_load_u16_d16_hi v73, v203 offset:9408
	s_wait_dscnt 0x1
	ds_load_u16_d16_hi v88, v203 offset:9312
	ds_load_u16 v95, v203 offset:8608
	ds_load_u16 v92, v203 offset:8224
	ds_load_u16_d16_hi v197, v203 offset:8384
	ds_load_u16_d16_hi v196, v203 offset:8256
	ds_load_u16 v94, v203 offset:8480
	ds_load_u16 v93, v203 offset:8352
	ds_load_u16_d16_hi v198, v203 offset:8512
	ds_load_u16_d16_hi v199, v203 offset:8640
	;; [unrolled: 1-line block ×3, first 2 shown]
	ds_load_u16 v89, v203 offset:9376
	ds_load_u16_d16_hi v86, v203 offset:10592
	ds_load_u16_d16_hi v74, v203 offset:9536
	;; [unrolled: 1-line block ×3, first 2 shown]
	ds_load_u16 v84, v203 offset:10272
	ds_load_u16 v91, v203 offset:9632
	;; [unrolled: 1-line block ×3, first 2 shown]
	s_wait_dscnt 0xf
	ds_load_u16_d16_hi v95, v203 offset:8672
	ds_load_u16 v79, v203 offset:10624
	ds_load_u16_d16_hi v76, v203 offset:10304
	ds_load_u16_d16_hi v77, v203 offset:10432
	;; [unrolled: 1-line block ×3, first 2 shown]
	s_wait_dscnt 0x3
	ds_load_u16_d16_hi v79, v203 offset:10688
	ds_load_u16 v87, v203 offset:10656
	ds_load_u16_d16_hi v85, v203 offset:10464
	ds_load_u16_d16_hi v89, v203 offset:9440
	;; [unrolled: 1-line block ×5, first 2 shown]
	.loc	1 112 24                        ; attention_bwd.py:112:24 @[ attention_bwd.py:253:40 ]
	v_wmma_f32_16x16x16_f16 v[64:71], v[196:199], v[172:175], 0
	.loc	1 103 21                        ; attention_bwd.py:103:21 @[ attention_bwd.py:253:40 ]
	ds_load_u16_d16_hi v92, v203 offset:8288
	ds_load_u16_d16_hi v94, v203 offset:8544
	;; [unrolled: 1-line block ×3, first 2 shown]
	.loc	1 112 24                        ; attention_bwd.py:112:24 @[ attention_bwd.py:253:40 ]
	v_wmma_f32_16x16x16_f16 v[64:71], v[72:75], v[96:99], v[64:71]
	.loc	1 103 21                        ; attention_bwd.py:103:21 @[ attention_bwd.py:253:40 ]
	s_wait_dscnt 0x8
	ds_load_u16_d16_hi v87, v203 offset:10720
	.loc	1 112 24                        ; attention_bwd.py:112:24 @[ attention_bwd.py:253:40 ]
	s_wait_loadcnt 0x0
	v_wmma_f32_16x16x16_f16 v[64:71], v[76:79], v[100:103], v[64:71]
	.loc	1 103 21                        ; attention_bwd.py:103:21 @[ attention_bwd.py:253:40 ]
	ds_load_u16 v81, v203 offset:11392
	ds_load_u16 v82, v203 offset:11520
	;; [unrolled: 1-line block ×6, first 2 shown]
	s_wait_dscnt 0x0
	ds_load_u16_d16_hi v76, v203 offset:12384
	ds_load_u16_d16_hi v80, v203 offset:11328
	;; [unrolled: 1-line block ×3, first 2 shown]
	ds_load_u16 v199, v203 offset:11680
	ds_load_u16 v198, v203 offset:11552
	;; [unrolled: 1-line block ×3, first 2 shown]
	ds_load_u16_d16_hi v82, v203 offset:11584
	ds_load_u16_d16_hi v83, v203 offset:11712
	ds_load_u16 v77, v203 offset:12448
	s_wait_dscnt 0x5
	ds_load_u16_d16_hi v199, v203 offset:11744
	ds_load_u16 v196, v203 offset:11296
	s_wait_dscnt 0x6
	ds_load_u16_d16_hi v198, v203 offset:11616
	s_wait_dscnt 0x1
	ds_load_u16_d16_hi v196, v203 offset:11360
	ds_load_u16_d16_hi v197, v203 offset:11488
	.loc	1 112 24                        ; attention_bwd.py:112:24 @[ attention_bwd.py:253:40 ]
	v_wmma_f32_16x16x16_f16 v[64:71], v[80:83], v[112:115], v[64:71]
	.loc	1 103 21                        ; attention_bwd.py:103:21 @[ attention_bwd.py:253:40 ]
	ds_load_u16 v73, v203 offset:12416
	ds_load_u16 v75, v203 offset:12672
	;; [unrolled: 1-line block ×8, first 2 shown]
	ds_load_u16_d16_hi v72, v203 offset:12352
	s_wait_dscnt 0x8
	ds_load_u16_d16_hi v73, v203 offset:12480
	s_wait_dscnt 0x3
	ds_load_u16_d16_hi v58, v203 offset:13664
	ds_load_u16_d16_hi v74, v203 offset:12608
	;; [unrolled: 1-line block ×3, first 2 shown]
	ds_load_u16 v56, v203 offset:13344
	ds_load_u16 v79, v203 offset:12704
	ds_load_u16 v78, v203 offset:12576
	ds_load_u16 v83, v203 offset:13696
	ds_load_u16_d16_hi v80, v203 offset:13376
	ds_load_u16_d16_hi v81, v203 offset:13504
	;; [unrolled: 1-line block ×3, first 2 shown]
	s_wait_dscnt 0x3
	ds_load_u16_d16_hi v83, v203 offset:13760
	ds_load_u16 v59, v203 offset:13728
	ds_load_u16_d16_hi v57, v203 offset:13536
	ds_load_u16_d16_hi v77, v203 offset:12512
	;; [unrolled: 1-line block ×5, first 2 shown]
	.loc	1 112 24                        ; attention_bwd.py:112:24 @[ attention_bwd.py:253:40 ]
	v_wmma_f32_16x16x16_f16 v[64:71], v[72:75], v[104:107], v[64:71]
	s_wait_dscnt 0x6
	s_delay_alu instid0(VALU_DEP_1)
	v_wmma_f32_16x16x16_f16 v[64:71], v[80:83], v[108:111], v[64:71]
	.loc	1 103 21                        ; attention_bwd.py:103:21 @[ attention_bwd.py:253:40 ]
	ds_load_u16 v34, v203 offset:14464
	ds_load_u16 v35, v203 offset:14592
	;; [unrolled: 1-line block ×8, first 2 shown]
	s_wait_dscnt 0x4
	ds_load_u16_d16_hi v72, v203 offset:15424
	s_wait_dscnt 0x3
	ds_load_u16_d16_hi v80, v203 offset:15456
	ds_load_u16_d16_hi v33, v203 offset:14400
	;; [unrolled: 1-line block ×3, first 2 shown]
	ds_load_u16 v63, v203 offset:14752
	ds_load_u16 v62, v203 offset:14624
	;; [unrolled: 1-line block ×3, first 2 shown]
	ds_load_u16_d16_hi v35, v203 offset:14656
	ds_load_u16_d16_hi v36, v203 offset:14784
	ds_load_u16 v81, v203 offset:15520
	s_wait_dscnt 0xb
	ds_load_u16_d16_hi v73, v203 offset:15552
	ds_load_u16_d16_hi v74, v203 offset:15680
	s_wait_dscnt 0xc
	ds_load_u16_d16_hi v75, v203 offset:15808
	ds_load_u16 v82, v203 offset:15648
	ds_load_u16 v83, v203 offset:15776
	s_wait_dscnt 0xa
	ds_load_u16_d16_hi v63, v203 offset:14816
	ds_load_u16 v60, v203 offset:14368
	s_wait_dscnt 0xb
	ds_load_u16_d16_hi v62, v203 offset:14688
	.loc	1 112 24                        ; attention_bwd.py:112:24 @[ attention_bwd.py:253:40 ]
	s_wait_dscnt 0x9
	v_wmma_f32_16x16x16_f16 v[64:71], v[33:36], v[153:156], v[64:71]
	.loc	1 103 21                        ; attention_bwd.py:103:21 @[ attention_bwd.py:253:40 ]
	ds_load_u16_d16_hi v59, v203 offset:13792
	s_wait_dscnt 0x2
	ds_load_u16_d16_hi v60, v203 offset:14432
	ds_load_u16_d16_hi v61, v203 offset:14560
	.loc	1 112 24                        ; attention_bwd.py:112:24 @[ attention_bwd.py:253:40 ]
	v_wmma_f32_16x16x16_f16 v[64:71], v[72:75], v[148:151], v[64:71]
	.loc	1 103 21                        ; attention_bwd.py:103:21 @[ attention_bwd.py:253:40 ]
	ds_load_u16_d16_hi v81, v203 offset:15584
	ds_load_u16_d16_hi v82, v203 offset:15712
	;; [unrolled: 1-line block ×3, first 2 shown]
	.loc	1 113 23                        ; attention_bwd.py:113:23 @[ attention_bwd.py:253:40 ]
	v_sub_f32_e32 v33, v64, v190
	v_sub_f32_e32 v34, v65, v190
	;; [unrolled: 1-line block ×8, first 2 shown]
	.loc	1 112 24                        ; attention_bwd.py:112:24 @[ attention_bwd.py:253:40 ]
	v_wmma_f32_16x16x16_f16 v[64:71], v[92:95], v[172:175], 0
	s_delay_alu instid0(VALU_DEP_1) | instskip(SKIP_2) | instid1(VALU_DEP_3)
	v_wmma_f32_16x16x16_f16 v[64:71], v[88:91], v[96:99], v[64:71]
	v_dual_mov_b32 v91, v96 :: v_dual_mov_b32 v92, v97
	v_dual_mov_b32 v93, v98 :: v_dual_mov_b32 v94, v99
	v_wmma_f32_16x16x16_f16 v[64:71], v[84:87], v[100:103], v[64:71]
	v_dual_mov_b32 v87, v112 :: v_dual_mov_b32 v88, v113
	v_dual_mov_b32 v89, v114 :: v_dual_mov_b32 v90, v115
	s_delay_alu instid0(VALU_DEP_1) | instskip(NEXT) | instid1(VALU_DEP_1)
	v_wmma_f32_16x16x16_f16 v[64:71], v[196:199], v[87:90], v[64:71]
	v_wmma_f32_16x16x16_f16 v[64:71], v[76:79], v[104:107], v[64:71]
	s_wait_dscnt 0x5
	s_delay_alu instid0(VALU_DEP_1) | instskip(SKIP_1) | instid1(VALU_DEP_1)
	v_wmma_f32_16x16x16_f16 v[64:71], v[56:59], v[108:111], v[64:71]
	s_wait_dscnt 0x3
	v_wmma_f32_16x16x16_f16 v[64:71], v[60:63], v[153:156], v[64:71]
	s_wait_dscnt 0x0
	s_delay_alu instid0(VALU_DEP_1) | instskip(NEXT) | instid1(VALU_DEP_1)
	v_wmma_f32_16x16x16_f16 v[64:71], v[80:83], v[148:151], v[64:71]
	.loc	1 113 23                        ; attention_bwd.py:113:23 @[ attention_bwd.py:253:40 ]
	v_sub_f32_e32 v56, v64, v190
	.loc	1 105 25                        ; attention_bwd.py:105:25 @[ attention_bwd.py:253:40 ]
	v_exp_f32_e32 v64, v207
	s_delay_alu instid0(VALU_DEP_2) | instskip(NEXT) | instid1(VALU_DEP_3)
	.loc	1 113 23                        ; attention_bwd.py:113:23 @[ attention_bwd.py:253:40 ]
	v_sub_f32_e32 v57, v65, v190
	v_sub_f32_e32 v58, v66, v190
	;; [unrolled: 1-line block ×3, first 2 shown]
	.loc	1 105 25                        ; attention_bwd.py:105:25 @[ attention_bwd.py:253:40 ]
	v_exp_f32_e32 v65, v186
	v_exp_f32_e32 v66, v185
	;; [unrolled: 1-line block ×3, first 2 shown]
	.loc	1 113 23                        ; attention_bwd.py:113:23 @[ attention_bwd.py:253:40 ]
	v_sub_f32_e32 v60, v68, v190
	v_sub_f32_e32 v61, v69, v190
	v_sub_f32_e32 v62, v70, v190
	.loc	1 114 19                        ; attention_bwd.py:114:19 @[ attention_bwd.py:253:40 ]
	v_fma_mixlo_f16 v33, v64, v33, 0
	.loc	1 105 25                        ; attention_bwd.py:105:25 @[ attention_bwd.py:253:40 ]
	v_exp_f32_e32 v64, v206
	.loc	1 113 23                        ; attention_bwd.py:113:23 @[ attention_bwd.py:253:40 ]
	v_sub_f32_e32 v63, v71, v190
	.loc	1 114 19                        ; attention_bwd.py:114:19 @[ attention_bwd.py:253:40 ]
	v_fma_mixlo_f16 v65, v65, v73, 0
	s_delay_alu instid0(TRANS32_DEP_3) | instskip(NEXT) | instid1(TRANS32_DEP_2)
	v_fma_mixlo_f16 v66, v66, v74, 0
	v_fma_mixlo_f16 v67, v67, v75, 0
	s_delay_alu instid0(TRANS32_DEP_1) | instskip(SKIP_1) | instid1(TRANS32_DEP_1)
	v_fma_mixlo_f16 v34, v64, v34, 0
	.loc	1 105 25                        ; attention_bwd.py:105:25 @[ attention_bwd.py:253:40 ]
	v_exp_f32_e32 v64, v189
	.loc	1 114 19                        ; attention_bwd.py:114:19 @[ attention_bwd.py:253:40 ]
	v_fma_mixlo_f16 v35, v64, v35, 0
	.loc	1 105 25                        ; attention_bwd.py:105:25 @[ attention_bwd.py:253:40 ]
	v_exp_f32_e32 v64, v188
	s_delay_alu instid0(TRANS32_DEP_1) | instskip(SKIP_1) | instid1(TRANS32_DEP_1)
	.loc	1 114 19                        ; attention_bwd.py:114:19 @[ attention_bwd.py:253:40 ]
	v_fma_mixlo_f16 v36, v64, v36, 0
	.loc	1 105 25                        ; attention_bwd.py:105:25 @[ attention_bwd.py:253:40 ]
	v_exp_f32_e32 v64, v187
	.loc	1 114 19                        ; attention_bwd.py:114:19 @[ attention_bwd.py:253:40 ]
	v_fma_mixlo_f16 v64, v64, v72, 0
	scratch_load_b128 v[72:75], off, off offset:32 ; 16-byte Folded Reload
	ds_store_b16 v194, v33 offset:16384
	ds_store_b16 v194, v34 offset:16512
	;; [unrolled: 1-line block ×8, first 2 shown]
	.loc	1 105 25                        ; attention_bwd.py:105:25 @[ attention_bwd.py:253:40 ]
	v_exp_f32_e32 v33, v183
	v_exp_f32_e32 v34, v182
	;; [unrolled: 1-line block ×4, first 2 shown]
	.loc	1 114 19                        ; attention_bwd.py:114:19 @[ attention_bwd.py:253:40 ]
	v_fma_mixlo_f16 v33, v33, v56, 0
	.loc	1 105 25                        ; attention_bwd.py:105:25 @[ attention_bwd.py:253:40 ]
	v_exp_f32_e32 v56, v179
	.loc	1 114 19                        ; attention_bwd.py:114:19 @[ attention_bwd.py:253:40 ]
	v_fma_mixlo_f16 v34, v34, v57, 0
	s_delay_alu instid0(TRANS32_DEP_3) | instskip(NEXT) | instid1(TRANS32_DEP_2)
	v_fma_mixlo_f16 v35, v35, v58, 0
	v_fma_mixlo_f16 v36, v36, v59, 0
	.loc	1 105 25                        ; attention_bwd.py:105:25 @[ attention_bwd.py:253:40 ]
	v_exp_f32_e32 v57, v178
	v_exp_f32_e32 v58, v177
	v_exp_f32_e32 v59, v176
	.loc	1 114 19                        ; attention_bwd.py:114:19 @[ attention_bwd.py:253:40 ]
	v_fma_mixlo_f16 v56, v56, v60, 0
	s_delay_alu instid0(TRANS32_DEP_3) | instskip(NEXT) | instid1(TRANS32_DEP_2)
	v_fma_mixlo_f16 v57, v57, v61, 0
	v_fma_mixlo_f16 v58, v58, v62, 0
	s_delay_alu instid0(TRANS32_DEP_1)
	v_fma_mixlo_f16 v59, v59, v63, 0
	ds_store_b16 v194, v33 offset:18432
	ds_store_b16 v194, v34 offset:18560
	;; [unrolled: 1-line block ×8, first 2 shown]
	s_wait_loadcnt_dscnt 0x0
	s_barrier_signal -1
	s_barrier_wait -1
	global_inv scope:SCOPE_SE
	ds_load_u16 v33, v195 offset:16384
	ds_load_u16 v34, v195 offset:16640
	ds_load_u16 v35, v195 offset:16896
	ds_load_u16 v36, v195 offset:17152
	ds_load_u16 v56, v195 offset:18432
	ds_load_u16 v57, v195 offset:18688
	ds_load_u16 v58, v195 offset:18944
	ds_load_u16 v59, v195 offset:19200
	s_wait_dscnt 0x7
	ds_load_u16_d16_hi v33, v195 offset:16512
	s_wait_dscnt 0x7
	ds_load_u16_d16_hi v34, v195 offset:16768
	;; [unrolled: 2-line block ×8, first 2 shown]
	.loc	1 117 25                        ; attention_bwd.py:117:25 @[ attention_bwd.py:253:40 ]
	s_wait_dscnt 0x4
	v_wmma_f32_16x16x16_f16 v[8:15], v[116:119], v[33:36], v[8:15]
	v_wmma_f32_16x16x16_f16 v[16:23], v[120:123], v[33:36], v[16:23]
	;; [unrolled: 1-line block ×4, first 2 shown]
	.loc	1 102 21                        ; attention_bwd.py:102:21 @[ attention_bwd.py:253:40 ]
	scratch_load_b32 v33, off, off offset:48 th:TH_LOAD_LU ; 4-byte Folded Reload
	.loc	1 117 25                        ; attention_bwd.py:117:25 @[ attention_bwd.py:253:40 ]
	s_wait_dscnt 0x0
	v_wmma_f32_16x16x16_f16 v[8:15], v[37:40], v[56:59], v[8:15]
	v_wmma_f32_16x16x16_f16 v[16:23], v[41:44], v[56:59], v[16:23]
	;; [unrolled: 1-line block ×4, first 2 shown]
	.loc	1 102 21                        ; attention_bwd.py:102:21 @[ attention_bwd.py:253:40 ]
	s_wait_loadcnt 0x0
	ds_store_b16 v252, v33
	scratch_load_b32 v33, off, off offset:64 th:TH_LOAD_LU ; 4-byte Folded Reload
	s_wait_loadcnt 0x0
	ds_store_b16 v252, v33 offset:512
	scratch_load_b32 v33, off, off offset:80 th:TH_LOAD_LU ; 4-byte Folded Reload
	s_wait_loadcnt 0x0
	ds_store_b16 v252, v33 offset:1024
	;; [unrolled: 3-line block ×6, first 2 shown]
	ds_store_b16 v252, v146 offset:3584
	scratch_load_b32 v33, off, off offset:208 th:TH_LOAD_LU ; 4-byte Folded Reload
	s_wait_loadcnt 0x0
	ds_store_b16 v252, v33 offset:4096
	ds_store_b16 v252, v145 offset:4608
	;; [unrolled: 1-line block ×3, first 2 shown]
	scratch_load_b32 v33, off, off offset:240 th:TH_LOAD_LU ; 4-byte Folded Reload
	s_wait_loadcnt 0x0
	ds_store_b16 v252, v33 offset:5632
	scratch_load_b32 v33, off, off offset:272 th:TH_LOAD_LU ; 4-byte Folded Reload
	s_wait_loadcnt 0x0
	ds_store_b16 v252, v33 offset:6144
	ds_store_b16 v252, v205 offset:6656
	;; [unrolled: 1-line block ×4, first 2 shown]
	.loc	1 103 21                        ; attention_bwd.py:103:21 @[ attention_bwd.py:253:40 ]
	ds_store_b16 v252, v160 offset:8192
	ds_store_b16 v252, v161 offset:8704
	;; [unrolled: 1-line block ×16, first 2 shown]
	.loc	1 101 25                        ; attention_bwd.py:101:25 @[ attention_bwd.py:253:40 ]
	s_cbranch_scc1 .LBB0_213
; %bb.214:                              ; %Flow
	.loc	1 0 25 is_stmt 0                ; attention_bwd.py:0:25
	s_clause 0x18                           ; 264-byte Folded Reload
	scratch_load_b64 v[228:229], off, off offset:608
	scratch_load_b64 v[166:167], off, off offset:616
	;; [unrolled: 1-line block ×16, first 2 shown]
	scratch_load_b128 v[161:164], off, off offset:416
	scratch_load_b128 v[157:160], off, off offset:432
	;; [unrolled: 1-line block ×8, first 2 shown]
	scratch_load_b64 v[204:205], off, off offset:736
.LBB0_215:                              ; %Flow2106
	s_clause 0x1                            ; 32-byte Folded Reload
	scratch_load_b128 v[99:102], off, off offset:288
	scratch_load_b128 v[108:111], off, off offset:304
	v_dual_mov_b32 v32, 0 :: v_dual_mov_b32 v41, 0
	v_dual_mov_b32 v40, 0 :: v_dual_mov_b32 v43, 0
	;; [unrolled: 1-line block ×8, first 2 shown]
	v_mov_b32_e32 v54, 0
	.loc	1 104 23 is_stmt 1              ; attention_bwd.py:104:23 @[ attention_bwd.py:253:40 ]
	s_and_b32 vcc_lo, exec_lo, s0
	.loc	1 117 25                        ; attention_bwd.py:117:25 @[ attention_bwd.py:253:40 ]
	s_wait_loadcnt_dscnt 0x0
	s_barrier_signal -1
	s_barrier_wait -1
	global_inv scope:SCOPE_SE
	.loc	1 103 21                        ; attention_bwd.py:103:21 @[ attention_bwd.py:253:40 ]
	s_wait_loadcnt 0x0
	s_barrier_signal -1
	s_barrier_wait -1
	global_inv scope:SCOPE_SE
	.loc	1 104 23                        ; attention_bwd.py:104:23 @[ attention_bwd.py:253:40 ]
	s_wait_alu depctr_sa_sdst(0)
	s_cbranch_vccnz .LBB0_217
; %bb.216:
	.loc	1 0 0 is_stmt 0                 ; attention_bwd.py:0 @[ attention_bwd.py:253:40 ]
	ds_load_u16 v33, v203 offset:256
	ds_load_u16 v34, v203 offset:384
	;; [unrolled: 1-line block ×4, first 2 shown]
	ds_load_u16 v38, v203
	ds_load_u16 v39, v203 offset:128
	ds_load_u16 v40, v203 offset:192
	;; [unrolled: 1-line block ×27, first 2 shown]
	.loc	1 104 23                        ; attention_bwd.py:104:23 @[ attention_bwd.py:253:40 ]
	s_wait_dscnt 0x1d
	v_perm_b32 v36, v35, v34, 0x5040100
	s_wait_dscnt 0x1c
	v_perm_b32 v35, v37, v33, 0x5040100
	;; [unrolled: 2-line block ×6, first 2 shown]
	v_dual_mov_b32 v119, v75 :: v_dual_mov_b32 v118, v74
	s_wait_dscnt 0x12
	v_perm_b32 v37, v47, v46, 0x5040100
	v_wmma_f32_16x16x16_f16 v[40:47], v[33:36], v[108:111], 0
	s_wait_dscnt 0x10
	v_perm_b32 v36, v49, v48, 0x5040100
	.loc	1 0 0                           ; attention_bwd.py:0 @[ attention_bwd.py:253:40 ]
	ds_load_u16 v33, v203 offset:2304
	ds_load_u16 v34, v203 offset:2368
	;; [unrolled: 1-line block ×4, first 2 shown]
	v_dual_mov_b32 v117, v73 :: v_dual_mov_b32 v116, v72
	.loc	1 104 23                        ; attention_bwd.py:104:23 @[ attention_bwd.py:253:40 ]
	s_wait_dscnt 0xe
	v_perm_b32 v59, v54, v55, 0x5040100
	s_wait_dscnt 0xa
	v_perm_b32 v61, v60, v61, 0x5040100
	v_perm_b32 v58, v56, v57, 0x5040100
	;; [unrolled: 1-line block ×4, first 2 shown]
	s_wait_dscnt 0x8
	v_perm_b32 v60, v62, v63, 0x5040100
	v_wmma_f32_16x16x16_f16 v[40:47], v[36:39], v[99:102], v[40:47]
	.loc	1 0 0                           ; attention_bwd.py:0 @[ attention_bwd.py:253:40 ]
	ds_load_u16 v72, v203 offset:3392
	ds_load_u16 v73, v203 offset:3552
	;; [unrolled: 1-line block ×8, first 2 shown]
	.loc	1 104 23                        ; attention_bwd.py:104:23 @[ attention_bwd.py:253:40 ]
	v_wmma_f32_16x16x16_f16 v[48:55], v[56:59], v[108:111], 0
	s_wait_dscnt 0xe
	v_perm_b32 v59, v64, v65, 0x5040100
	s_wait_dscnt 0xc
	v_perm_b32 v58, v66, v67, 0x5040100
	.loc	1 0 0                           ; attention_bwd.py:0 @[ attention_bwd.py:253:40 ]
	ds_load_u16 v56, v203 offset:2176
	ds_load_u16 v57, v203 offset:2240
	v_dual_mov_b32 v111, v98 :: v_dual_mov_b32 v110, v97
	v_dual_mov_b32 v109, v96 :: v_dual_mov_b32 v108, v95
	.loc	1 104 23                        ; attention_bwd.py:104:23 @[ attention_bwd.py:253:40 ]
	v_wmma_f32_16x16x16_f16 v[48:55], v[58:61], v[99:102], v[48:55]
	.loc	1 0 0                           ; attention_bwd.py:0 @[ attention_bwd.py:253:40 ]
	ds_load_u16 v37, v203 offset:2528
	ds_load_u16 v38, v203 offset:2464
	;; [unrolled: 1-line block ×10, first 2 shown]
	.loc	1 104 23                        ; attention_bwd.py:104:23 @[ attention_bwd.py:253:40 ]
	s_wait_dscnt 0x14
	v_perm_b32 v36, v68, v35, 0x5040100
	v_perm_b32 v35, v34, v33, 0x5040100
	.loc	1 0 0                           ; attention_bwd.py:0 @[ attention_bwd.py:253:40 ]
	ds_load_u16 v65, v203 offset:3072
	ds_load_u16 v66, v203 offset:3136
	;; [unrolled: 1-line block ×4, first 2 shown]
	v_dual_mov_b32 v100, v94 :: v_dual_mov_b32 v99, v93
	v_dual_mov_b32 v98, v92 :: v_dual_mov_b32 v97, v91
	v_dual_mov_b32 v96, v90 :: v_dual_mov_b32 v95, v89
	v_dual_mov_b32 v94, v88 :: v_dual_mov_b32 v93, v87
	v_dual_mov_b32 v92, v86 :: v_dual_mov_b32 v91, v85
	.loc	1 104 23                        ; attention_bwd.py:104:23 @[ attention_bwd.py:253:40 ]
	s_wait_dscnt 0xe
	v_perm_b32 v34, v57, v56, 0x5040100
	s_wait_dscnt 0xa
	v_perm_b32 v58, v39, v58, 0x5040100
	;; [unrolled: 2-line block ×3, first 2 shown]
	v_perm_b32 v59, v37, v38, 0x5040100
	s_wait_dscnt 0x6
	v_perm_b32 v57, v61, v62, 0x5040100
	.loc	1 0 0                           ; attention_bwd.py:0 @[ attention_bwd.py:253:40 ]
	ds_load_u16 v37, v203 offset:3296
	ds_load_u16 v38, v203 offset:3232
	;; [unrolled: 1-line block ×4, first 2 shown]
	.loc	1 104 23                        ; attention_bwd.py:104:23 @[ attention_bwd.py:253:40 ]
	s_wait_dscnt 0x8
	v_perm_b32 v56, v63, v64, 0x5040100
	scratch_load_b128 v[61:64], off, off offset:336 th:TH_LOAD_LU ; 16-byte Folded Reload
	v_dual_mov_b32 v90, v84 :: v_dual_mov_b32 v89, v83
	v_dual_mov_b32 v88, v82 :: v_dual_mov_b32 v87, v81
	;; [unrolled: 1-line block ×3, first 2 shown]
	.loc	1 0 0                           ; attention_bwd.py:0 @[ attention_bwd.py:253:40 ]
	ds_load_u16 v79, v203 offset:5216
	ds_load_u16 v80, v203 offset:5152
	.loc	1 104 23                        ; attention_bwd.py:104:23 @[ attention_bwd.py:253:40 ]
	s_wait_loadcnt 0x0
	v_wmma_f32_16x16x16_f16 v[48:55], v[56:59], v[61:64], v[48:55]
	v_perm_b32 v59, v73, v74, 0x5040100
	v_perm_b32 v58, v75, v76, 0x5040100
	scratch_load_b128 v[73:76], off, off offset:320 th:TH_LOAD_LU ; 16-byte Folded Reload
	v_wmma_f32_16x16x16_f16 v[40:47], v[33:36], v[61:64], v[40:47]
	v_perm_b32 v36, v71, v70, 0x5040100
	v_perm_b32 v35, v72, v69, 0x5040100
	s_wait_dscnt 0x6
	v_perm_b32 v34, v68, v67, 0x5040100
	v_perm_b32 v33, v66, v65, 0x5040100
	.loc	1 0 0                           ; attention_bwd.py:0 @[ attention_bwd.py:253:40 ]
	ds_load_u16 v61, v203 offset:4352
	ds_load_u16 v62, v203 offset:4416
	;; [unrolled: 1-line block ×8, first 2 shown]
	.loc	1 104 23                        ; attention_bwd.py:104:23 @[ attention_bwd.py:253:40 ]
	s_wait_dscnt 0xc
	v_perm_b32 v57, v37, v38, 0x5040100
	s_wait_dscnt 0xa
	v_perm_b32 v56, v39, v60, 0x5040100
	.loc	1 0 0                           ; attention_bwd.py:0 @[ attention_bwd.py:253:40 ]
	ds_load_u16 v37, v203 offset:4096
	ds_load_u16 v38, v203 offset:4224
	;; [unrolled: 1-line block ×8, first 2 shown]
	.loc	1 104 23                        ; attention_bwd.py:104:23 @[ attention_bwd.py:253:40 ]
	s_wait_loadcnt 0x0
	v_wmma_f32_16x16x16_f16 v[40:47], v[33:36], v[73:76], v[40:47]
	v_wmma_f32_16x16x16_f16 v[48:55], v[56:59], v[73:76], v[48:55]
	s_wait_dscnt 0xc
	v_perm_b32 v36, v64, v63, 0x5040100
	v_perm_b32 v35, v62, v61, 0x5040100
	s_wait_dscnt 0x5
	v_perm_b32 v34, v39, v38, 0x5040100
	s_wait_dscnt 0x4
	v_perm_b32 v33, v60, v37, 0x5040100
	v_perm_b32 v59, v65, v66, 0x5040100
	;; [unrolled: 1-line block ×3, first 2 shown]
	s_wait_dscnt 0x2
	v_perm_b32 v57, v69, v70, 0x5040100
	s_wait_dscnt 0x0
	v_perm_b32 v56, v71, v72, 0x5040100
	v_wmma_f32_16x16x16_f16 v[40:47], v[33:36], v[104:107], v[40:47]
	.loc	1 0 0                           ; attention_bwd.py:0 @[ attention_bwd.py:253:40 ]
	ds_load_u16 v73, v203 offset:5120
	ds_load_u16 v74, v203 offset:5184
	;; [unrolled: 1-line block ×14, first 2 shown]
	.loc	1 104 23                        ; attention_bwd.py:104:23 @[ attention_bwd.py:253:40 ]
	v_wmma_f32_16x16x16_f16 v[48:55], v[56:59], v[104:107], v[48:55]
	scratch_load_b128 v[104:107], off, off th:TH_LOAD_LU ; 16-byte Folded Reload
	.loc	1 0 0                           ; attention_bwd.py:0 @[ attention_bwd.py:253:40 ]
	ds_load_u16 v56, v203 offset:6400
	ds_load_u16 v57, v203 offset:6528
	;; [unrolled: 1-line block ×12, first 2 shown]
	.loc	1 104 23                        ; attention_bwd.py:104:23 @[ attention_bwd.py:253:40 ]
	s_wait_dscnt 0x11
	v_perm_b32 v36, v39, v38, 0x5040100
	s_wait_dscnt 0x10
	v_perm_b32 v35, v60, v37, 0x5040100
	.loc	1 0 0                           ; attention_bwd.py:0 @[ attention_bwd.py:253:40 ]
	ds_load_u16 v37, v203 offset:6624
	ds_load_u16 v38, v203 offset:6560
	;; [unrolled: 1-line block ×4, first 2 shown]
	.loc	1 104 23                        ; attention_bwd.py:104:23 @[ attention_bwd.py:253:40 ]
	v_perm_b32 v34, v76, v75, 0x5040100
	v_perm_b32 v33, v74, v73, 0x5040100
	.loc	1 0 0                           ; attention_bwd.py:0 @[ attention_bwd.py:253:40 ]
	ds_load_u16 v73, v203 offset:7168
	ds_load_u16 v74, v203 offset:7232
	;; [unrolled: 1-line block ×4, first 2 shown]
	.loc	1 104 23                        ; attention_bwd.py:104:23 @[ attention_bwd.py:253:40 ]
	v_wmma_f32_16x16x16_f16 v[40:47], v[33:36], v[144:147], v[40:47]
	s_wait_dscnt 0x11
	v_perm_b32 v36, v58, v57, 0x5040100
	s_wait_dscnt 0x10
	v_perm_b32 v35, v59, v56, 0x5040100
	;; [unrolled: 2-line block ×3, first 2 shown]
	v_perm_b32 v33, v66, v65, 0x5040100
	v_perm_b32 v59, v61, v62, 0x5040100
	;; [unrolled: 1-line block ×3, first 2 shown]
	.loc	1 0 0                           ; attention_bwd.py:0 @[ attention_bwd.py:253:40 ]
	ds_load_u16 v61, v203 offset:7424
	ds_load_u16 v62, v203 offset:7488
	;; [unrolled: 1-line block ×12, first 2 shown]
	.loc	1 104 23                        ; attention_bwd.py:104:23 @[ attention_bwd.py:253:40 ]
	v_perm_b32 v57, v77, v78, 0x5040100
	v_perm_b32 v56, v79, v80, 0x5040100
	s_delay_alu instid0(VALU_DEP_1)
	v_wmma_f32_16x16x16_f16 v[48:55], v[56:59], v[144:147], v[48:55]
	s_wait_dscnt 0xe
	v_perm_b32 v56, v74, v73, 0x5040100
	s_wait_dscnt 0xc
	v_perm_b32 v57, v76, v75, 0x5040100
	;; [unrolled: 2-line block ×4, first 2 shown]
	s_wait_loadcnt 0x0
	v_wmma_f32_16x16x16_f16 v[40:47], v[33:36], v[104:107], v[40:47]
	v_perm_b32 v36, v37, v38, 0x5040100
	v_perm_b32 v35, v39, v60, 0x5040100
	;; [unrolled: 1-line block ×4, first 2 shown]
	v_wmma_f32_16x16x16_f16 v[40:47], v[56:59], v[116:119], v[40:47]
	s_delay_alu instid0(VALU_DEP_2)
	v_wmma_f32_16x16x16_f16 v[48:55], v[33:36], v[104:107], v[48:55]
	s_wait_dscnt 0x6
	v_perm_b32 v36, v65, v66, 0x5040100
	s_wait_dscnt 0x4
	v_perm_b32 v35, v67, v68, 0x5040100
	;; [unrolled: 2-line block ×3, first 2 shown]
	v_dual_mov_b32 v79, v85 :: v_dual_mov_b32 v80, v86
	s_wait_dscnt 0x0
	v_perm_b32 v33, v83, v84, 0x5040100
	v_dual_mov_b32 v81, v87 :: v_dual_mov_b32 v82, v88
	v_dual_mov_b32 v83, v89 :: v_dual_mov_b32 v84, v90
	;; [unrolled: 1-line block ×9, first 2 shown]
	v_wmma_f32_16x16x16_f16 v[48:55], v[33:36], v[116:119], v[48:55]
.LBB0_217:
	.loc	1 0 23                          ; attention_bwd.py:0:23
	v_dual_mov_b32 v33, 0 :: v_dual_mov_b32 v34, 0
	v_dual_mov_b32 v35, 0 :: v_dual_mov_b32 v36, 0
	;; [unrolled: 1-line block ×7, first 2 shown]
	v_mov_b32_e32 v63, 0
	.loc	1 112 24 is_stmt 1              ; attention_bwd.py:112:24 @[ attention_bwd.py:253:40 ]
	s_and_b32 vcc_lo, exec_lo, s0
	s_wait_alu depctr_sa_sdst(0)
	s_cbranch_vccnz .LBB0_219
; %bb.218:
	.loc	1 0 0 is_stmt 0                 ; attention_bwd.py:0 @[ attention_bwd.py:253:40 ]
	ds_load_u16 v32, v203 offset:8192
	ds_load_u16 v60, v203 offset:8224
	;; [unrolled: 1-line block ×27, first 2 shown]
	v_dual_mov_b32 v147, v82 :: v_dual_mov_b32 v146, v81
	v_dual_mov_b32 v145, v80 :: v_dual_mov_b32 v144, v79
	ds_load_u16 v79, v203 offset:9664
	ds_load_u16 v80, v203 offset:9696
	;; [unrolled: 1-line block ×4, first 2 shown]
	v_dual_mov_b32 v151, v86 :: v_dual_mov_b32 v150, v85
	v_dual_mov_b32 v219, v94 :: v_dual_mov_b32 v218, v93
	;; [unrolled: 1-line block ×3, first 2 shown]
	ds_load_u16 v83, v203 offset:9504
	ds_load_u16 v84, v203 offset:10240
	;; [unrolled: 1-line block ×4, first 2 shown]
	v_dual_mov_b32 v217, v92 :: v_dual_mov_b32 v216, v91
	ds_load_u16 v91, v203 offset:10272
	ds_load_u16 v92, v203 offset:10496
	;; [unrolled: 1-line block ×4, first 2 shown]
	v_dual_mov_b32 v211, v90 :: v_dual_mov_b32 v210, v89
	v_dual_mov_b32 v209, v88 :: v_dual_mov_b32 v208, v87
	ds_load_u16 v87, v203 offset:10432
	ds_load_u16 v88, v203 offset:10464
	;; [unrolled: 1-line block ×4, first 2 shown]
	v_dual_mov_b32 v223, v98 :: v_dual_mov_b32 v222, v97
	v_dual_mov_b32 v221, v96 :: v_dual_mov_b32 v220, v95
	ds_load_u16 v95, v203 offset:10688
	ds_load_u16 v96, v203 offset:10720
	;; [unrolled: 1-line block ×17, first 2 shown]
	.loc	1 112 24                        ; attention_bwd.py:112:24 @[ attention_bwd.py:253:40 ]
	s_wait_dscnt 0x30
	v_perm_b32 v59, v39, v38, 0x5040100
	v_perm_b32 v58, v37, v36, 0x5040100
	;; [unrolled: 1-line block ×4, first 2 shown]
	v_dual_mov_b32 v215, v115 :: v_dual_mov_b32 v214, v114
	v_dual_mov_b32 v213, v113 :: v_dual_mov_b32 v212, v112
	.loc	1 0 0                           ; attention_bwd.py:0 @[ attention_bwd.py:253:40 ]
	ds_load_u16 v112, v203 offset:11744
	ds_load_u16 v113, v203 offset:11680
	;; [unrolled: 1-line block ×20, first 2 shown]
	.loc	1 112 24                        ; attention_bwd.py:112:24 @[ attention_bwd.py:253:40 ]
	v_wmma_f32_16x16x16_f16 v[32:39], v[56:59], v[220:223], 0
	s_wait_dscnt 0x34
	v_perm_b32 v59, v79, v78, 0x5040100
	v_perm_b32 v58, v77, v76, 0x5040100
	;; [unrolled: 1-line block ×4, first 2 shown]
	.loc	1 0 0                           ; attention_bwd.py:0 @[ attention_bwd.py:253:40 ]
	ds_load_u16 v76, v203 offset:13568
	ds_load_u16 v77, v203 offset:13632
	;; [unrolled: 1-line block ×8, first 2 shown]
	.loc	1 112 24                        ; attention_bwd.py:112:24 @[ attention_bwd.py:253:40 ]
	v_perm_b32 v71, v64, v65, 0x5040100
	v_perm_b32 v70, v66, v68, 0x5040100
	;; [unrolled: 1-line block ×3, first 2 shown]
	v_wmma_f32_16x16x16_f16 v[32:39], v[56:59], v[216:219], v[32:39]
	s_wait_dscnt 0x2c
	v_perm_b32 v59, v95, v94, 0x5040100
	v_perm_b32 v58, v93, v92, 0x5040100
	;; [unrolled: 1-line block ×5, first 2 shown]
	.loc	1 0 0                           ; attention_bwd.py:0 @[ attention_bwd.py:253:40 ]
	ds_load_u16 v132, v203 offset:13312
	ds_load_u16 v133, v203 offset:13376
	;; [unrolled: 1-line block ×8, first 2 shown]
	.loc	1 112 24                        ; attention_bwd.py:112:24 @[ attention_bwd.py:253:40 ]
	s_wait_dscnt 0x14
	v_perm_b32 v67, v127, v126, 0x5040100
	v_perm_b32 v66, v125, v124, 0x5040100
	v_wmma_f32_16x16x16_f16 v[32:39], v[56:59], v[212:215], v[32:39]
	v_perm_b32 v59, v111, v110, 0x5040100
	v_perm_b32 v58, v109, v108, 0x5040100
	;; [unrolled: 1-line block ×6, first 2 shown]
	.loc	1 0 0                           ; attention_bwd.py:0 @[ attention_bwd.py:253:40 ]
	ds_load_u16 v84, v203 offset:14336
	ds_load_u16 v85, v203 offset:14400
	;; [unrolled: 1-line block ×16, first 2 shown]
	.loc	1 112 24                        ; attention_bwd.py:112:24 @[ attention_bwd.py:253:40 ]
	v_wmma_f32_16x16x16_f16 v[32:39], v[56:59], v[208:211], v[32:39]
	v_wmma_f32_16x16x16_f16 v[56:63], v[68:71], v[220:223], 0
	v_perm_b32 v71, v80, v81, 0x5040100
	v_perm_b32 v70, v82, v83, 0x5040100
	;; [unrolled: 1-line block ×4, first 2 shown]
	v_wmma_f32_16x16x16_f16 v[32:39], v[64:67], v[148:151], v[32:39]
	v_perm_b32 v67, v96, v97, 0x5040100
	v_perm_b32 v66, v98, v99, 0x5040100
	v_perm_b32 v65, v88, v89, 0x5040100
	v_wmma_f32_16x16x16_f16 v[56:63], v[68:71], v[216:219], v[56:63]
	v_perm_b32 v64, v90, v91, 0x5040100
	.loc	1 0 0                           ; attention_bwd.py:0 @[ attention_bwd.py:253:40 ]
	ds_load_u16 v72, v203 offset:15360
	ds_load_u16 v73, v203 offset:15424
	;; [unrolled: 1-line block ×8, first 2 shown]
	.loc	1 112 24                        ; attention_bwd.py:112:24 @[ attention_bwd.py:253:40 ]
	s_wait_dscnt 0x24
	v_perm_b32 v71, v79, v78, 0x5040100
	v_perm_b32 v70, v77, v76, 0x5040100
	.loc	1 0 0                           ; attention_bwd.py:0 @[ attention_bwd.py:253:40 ]
	ds_load_u16 v76, v203 offset:15616
	ds_load_u16 v77, v203 offset:15680
	;; [unrolled: 1-line block ×8, first 2 shown]
	.loc	1 112 24                        ; attention_bwd.py:112:24 @[ attention_bwd.py:253:40 ]
	v_wmma_f32_16x16x16_f16 v[56:63], v[64:67], v[212:215], v[56:63]
	v_perm_b32 v67, v112, v113, 0x5040100
	v_perm_b32 v66, v114, v115, 0x5040100
	;; [unrolled: 1-line block ×4, first 2 shown]
	s_wait_dscnt 0x24
	v_perm_b32 v69, v135, v134, 0x5040100
	v_perm_b32 v68, v133, v132, 0x5040100
	s_delay_alu instid0(VALU_DEP_3)
	v_wmma_f32_16x16x16_f16 v[56:63], v[64:67], v[208:211], v[56:63]
	v_perm_b32 v67, v128, v129, 0x5040100
	v_perm_b32 v66, v130, v131, 0x5040100
	;; [unrolled: 1-line block ×4, first 2 shown]
	v_wmma_f32_16x16x16_f16 v[32:39], v[68:71], v[144:147], v[32:39]
	s_wait_dscnt 0x14
	v_perm_b32 v71, v103, v102, 0x5040100
	v_perm_b32 v70, v101, v100, 0x5040100
	;; [unrolled: 1-line block ×3, first 2 shown]
	v_wmma_f32_16x16x16_f16 v[56:63], v[64:67], v[148:151], v[56:63]
	v_perm_b32 v67, v140, v141, 0x5040100
	v_perm_b32 v66, v142, v143, 0x5040100
	;; [unrolled: 1-line block ×5, first 2 shown]
	s_delay_alu instid0(VALU_DEP_2)
	v_wmma_f32_16x16x16_f16 v[56:63], v[64:67], v[144:147], v[56:63]
	s_wait_dscnt 0x12
	v_perm_b32 v67, v108, v109, 0x5040100
	s_wait_dscnt 0x10
	v_perm_b32 v66, v110, v111, 0x5040100
	v_perm_b32 v65, v92, v93, 0x5040100
	v_perm_b32 v64, v94, v95, 0x5040100
	v_wmma_f32_16x16x16_f16 v[32:39], v[68:71], v[157:160], v[32:39]
	s_wait_dscnt 0x4
	v_perm_b32 v71, v79, v78, 0x5040100
	v_perm_b32 v70, v77, v76, 0x5040100
	;; [unrolled: 1-line block ×4, first 2 shown]
	v_wmma_f32_16x16x16_f16 v[56:63], v[64:67], v[157:160], v[56:63]
	s_wait_dscnt 0x2
	v_perm_b32 v67, v88, v89, 0x5040100
	s_wait_dscnt 0x0
	v_perm_b32 v66, v90, v91, 0x5040100
	v_perm_b32 v65, v80, v81, 0x5040100
	;; [unrolled: 1-line block ×3, first 2 shown]
	v_wmma_f32_16x16x16_f16 v[32:39], v[68:71], v[161:164], v[32:39]
	s_delay_alu instid0(VALU_DEP_2)
	v_wmma_f32_16x16x16_f16 v[56:63], v[64:67], v[161:164], v[56:63]
.LBB0_219:
	.loc	1 0 0                           ; attention_bwd.py:0 @[ attention_bwd.py:253:40 ]
	ds_load_b128 v[92:95], v202
	ds_load_b128 v[64:67], v202 offset:32
	ds_load_b128 v[88:91], v202 offset:2048
	;; [unrolled: 1-line block ×7, first 2 shown]
	.loc	1 105 30 is_stmt 1              ; attention_bwd.py:105:30 @[ attention_bwd.py:253:40 ]
	v_dual_sub_f32 v40, v40, v192 :: v_dual_sub_f32 v33, v33, v190
	v_dual_sub_f32 v41, v41, v192 :: v_dual_sub_f32 v32, v32, v190
	;; [unrolled: 1-line block ×16, first 2 shown]
	.loc	1 105 25 is_stmt 0              ; attention_bwd.py:105:25 @[ attention_bwd.py:253:40 ]
	v_exp_f32_e32 v40, v40
	v_exp_f32_e32 v41, v41
	;; [unrolled: 1-line block ×16, first 2 shown]
	.loc	1 114 19 is_stmt 1              ; attention_bwd.py:114:19 @[ attention_bwd.py:253:40 ]
	v_fma_mixlo_f16 v32, v40, v32, 0
	v_fma_mixlo_f16 v33, v41, v33, 0
	;; [unrolled: 1-line block ×16, first 2 shown]
	ds_store_b16 v194, v32 offset:16384
	ds_store_b16 v194, v33 offset:16512
	;; [unrolled: 1-line block ×16, first 2 shown]
	.loc	1 117 25                        ; attention_bwd.py:117:25 @[ attention_bwd.py:253:40 ]
	s_and_b32 vcc_lo, exec_lo, s0
	.loc	1 114 19                        ; attention_bwd.py:114:19 @[ attention_bwd.py:253:40 ]
	s_wait_loadcnt_dscnt 0x0
	s_barrier_signal -1
	s_barrier_wait -1
	global_inv scope:SCOPE_SE
	.loc	1 117 25                        ; attention_bwd.py:117:25 @[ attention_bwd.py:253:40 ]
	s_wait_alu depctr_sa_sdst(0)
	s_cbranch_vccnz .LBB0_221
; %bb.220:
	.loc	1 114 19                        ; attention_bwd.py:114:19 @[ attention_bwd.py:253:40 ]
	ds_load_u16 v35, v195 offset:17152
	ds_load_u16 v34, v195 offset:16896
	;; [unrolled: 1-line block ×8, first 2 shown]
	s_wait_dscnt 0x7
	ds_load_u16_d16_hi v35, v195 offset:17280
	s_wait_dscnt 0x7
	ds_load_u16_d16_hi v34, v195 offset:17024
	;; [unrolled: 2-line block ×8, first 2 shown]
	.loc	1 117 25                        ; attention_bwd.py:117:25 @[ attention_bwd.py:253:40 ]
	s_wait_dscnt 0x4
	v_wmma_f32_16x16x16_f16 v[8:15], v[92:95], v[32:35], v[8:15]
	v_wmma_f32_16x16x16_f16 v[16:23], v[88:91], v[32:35], v[16:23]
	;; [unrolled: 1-line block ×4, first 2 shown]
	s_wait_dscnt 0x0
	v_wmma_f32_16x16x16_f16 v[8:15], v[64:67], v[36:39], v[8:15]
	v_wmma_f32_16x16x16_f16 v[16:23], v[68:71], v[36:39], v[16:23]
	;; [unrolled: 1-line block ×4, first 2 shown]
.Ltmp175:
.LBB0_221:
	.loc	1 0 25 is_stmt 0                ; attention_bwd.py:0:25
	s_clause 0xf                            ; 128-byte Folded Reload
	scratch_load_b64 v[60:61], off, off offset:480 th:TH_LOAD_LU
	scratch_load_b64 v[62:63], off, off offset:488 th:TH_LOAD_LU
	;; [unrolled: 1-line block ×16, first 2 shown]
	.loc	1 152 10 is_stmt 1              ; attention_bwd.py:152:10
	s_add_nc_u64 s[0:1], s[22:23], s[20:21]
	.loc	1 257 19                        ; attention_bwd.py:257:19
	s_wait_alu depctr_sa_sdst(0)
	v_add_co_u32 v94, vcc_lo, s0, v228
	s_wait_alu depctr_va_vcc(0)
	v_add_co_ci_u32_e64 v95, null, s1, v229, vcc_lo
	s_mov_b32 s0, 0x3f317218
	.loc	1 257 50 is_stmt 0              ; attention_bwd.py:257:50
	v_add_co_u32 v32, vcc_lo, v94, v166
	s_wait_alu depctr_va_vcc(0)
	v_add_co_ci_u32_e64 v33, null, v95, v167, vcc_lo
	v_add_co_u32 v34, vcc_lo, v94, v168
	s_wait_alu depctr_va_vcc(0)
	v_add_co_ci_u32_e64 v35, null, v95, v169, vcc_lo
	;; [unrolled: 3-line block ×14, first 2 shown]
	.loc	1 259 22 is_stmt 1              ; attention_bwd.py:259:22
	s_wait_alu depctr_sa_sdst(0)
	v_fma_mixlo_f16 v8, v8, s0, 0
	v_fma_mixlo_f16 v9, v9, s0, 0
	;; [unrolled: 1-line block ×32, first 2 shown]
	.loc	1 257 50                        ; attention_bwd.py:257:50
	s_wait_loadcnt 0xf
	v_add_co_u32 v60, vcc_lo, v94, v60
	s_wait_alu depctr_va_vcc(0)
	v_add_co_ci_u32_e64 v61, null, v95, v61, vcc_lo
	s_wait_loadcnt 0xe
	v_add_co_u32 v62, vcc_lo, v94, v62
	s_wait_alu depctr_va_vcc(0)
	v_add_co_ci_u32_e64 v63, null, v95, v63, vcc_lo
	;; [unrolled: 4-line block ×7, first 2 shown]
	v_add_co_u32 v74, vcc_lo, v94, v188
	s_wait_alu depctr_va_vcc(0)
	v_add_co_ci_u32_e64 v75, null, v95, v189, vcc_lo
	s_wait_loadcnt 0x8
	v_add_co_u32 v76, vcc_lo, v94, v76
	s_wait_alu depctr_va_vcc(0)
	v_add_co_ci_u32_e64 v77, null, v95, v77, vcc_lo
	s_wait_loadcnt 0x7
	;; [unrolled: 4-line block ×3, first 2 shown]
	v_add_co_u32 v80, vcc_lo, v94, v80
	s_wait_alu depctr_va_vcc(0)
	v_add_co_ci_u32_e64 v81, null, v95, v81, vcc_lo
	v_add_co_u32 v82, vcc_lo, v94, v82
	s_wait_alu depctr_va_vcc(0)
	v_add_co_ci_u32_e64 v83, null, v95, v83, vcc_lo
	s_wait_loadcnt 0x3
	v_add_co_u32 v84, vcc_lo, v94, v84
	s_wait_alu depctr_va_vcc(0)
	v_add_co_ci_u32_e64 v85, null, v95, v85, vcc_lo
	v_add_co_u32 v86, vcc_lo, v94, v86
	s_wait_alu depctr_va_vcc(0)
	v_add_co_ci_u32_e64 v87, null, v95, v87, vcc_lo
	s_wait_loadcnt 0x2
	v_add_co_u32 v88, vcc_lo, v94, v88
	s_wait_alu depctr_va_vcc(0)
	v_add_co_ci_u32_e64 v89, null, v95, v89, vcc_lo
	s_wait_loadcnt 0x1
	v_add_co_u32 v90, vcc_lo, v94, v90
	s_wait_alu depctr_va_vcc(0)
	v_add_co_ci_u32_e64 v91, null, v95, v91, vcc_lo
	v_add_co_u32 v92, vcc_lo, v94, v204
	s_wait_alu depctr_va_vcc(0)
	v_add_co_ci_u32_e64 v93, null, v95, v205, vcc_lo
	s_wait_loadcnt 0x0
	v_add_co_u32 v94, vcc_lo, v94, v96
	s_wait_alu depctr_va_vcc(0)
	v_add_co_ci_u32_e64 v95, null, v95, v97, vcc_lo
	.loc	1 259 22                        ; attention_bwd.py:259:22
	s_clause 0x1f
	global_store_b16 v[32:33], v8, off
	global_store_b16 v[34:35], v9, off
	;; [unrolled: 1-line block ×32, first 2 shown]
	.loc	1 259 4 is_stmt 0               ; attention_bwd.py:259:4
	s_nop 0
	s_sendmsg sendmsg(MSG_DEALLOC_VGPRS)
	s_endpgm
.Ltmp176:
	.section	.rodata,"a",@progbits
	.p2align	6, 0x0
	.amdhsa_kernel _attn_bwd
		.amdhsa_group_segment_fixed_size 0
		.amdhsa_private_segment_fixed_size 1276
		.amdhsa_kernarg_size 120
		.amdhsa_user_sgpr_count 2
		.amdhsa_user_sgpr_dispatch_ptr 0
		.amdhsa_user_sgpr_queue_ptr 0
		.amdhsa_user_sgpr_kernarg_segment_ptr 1
		.amdhsa_user_sgpr_dispatch_id 0
		.amdhsa_user_sgpr_private_segment_size 0
		.amdhsa_wavefront_size32 1
		.amdhsa_uses_dynamic_stack 0
		.amdhsa_enable_private_segment 1
		.amdhsa_system_sgpr_workgroup_id_x 1
		.amdhsa_system_sgpr_workgroup_id_y 1
		.amdhsa_system_sgpr_workgroup_id_z 1
		.amdhsa_system_sgpr_workgroup_info 0
		.amdhsa_system_vgpr_workitem_id 0
		.amdhsa_next_free_vgpr 256
		.amdhsa_next_free_sgpr 105
		.amdhsa_reserve_vcc 1
		.amdhsa_float_round_mode_32 0
		.amdhsa_float_round_mode_16_64 0
		.amdhsa_float_denorm_mode_32 3
		.amdhsa_float_denorm_mode_16_64 3
		.amdhsa_fp16_overflow 0
		.amdhsa_workgroup_processor_mode 1
		.amdhsa_memory_ordered 1
		.amdhsa_forward_progress 1
		.amdhsa_inst_pref_size 255
		.amdhsa_round_robin_scheduling 0
		.amdhsa_exception_fp_ieee_invalid_op 0
		.amdhsa_exception_fp_denorm_src 0
		.amdhsa_exception_fp_ieee_div_zero 0
		.amdhsa_exception_fp_ieee_overflow 0
		.amdhsa_exception_fp_ieee_underflow 0
		.amdhsa_exception_fp_ieee_inexact 0
		.amdhsa_exception_int_div_zero 0
	.end_amdhsa_kernel
	.text
.Lfunc_end0:
	.size	_attn_bwd, .Lfunc_end0-_attn_bwd
	.cfi_endproc
                                        ; -- End function
	.set _attn_bwd.num_vgpr, 256
	.set _attn_bwd.num_agpr, 0
	.set _attn_bwd.numbered_sgpr, 105
	.set _attn_bwd.num_named_barrier, 0
	.set _attn_bwd.private_seg_size, 1276
	.set _attn_bwd.uses_vcc, 1
	.set _attn_bwd.uses_flat_scratch, 1
	.set _attn_bwd.has_dyn_sized_stack, 0
	.set _attn_bwd.has_recursion, 0
	.set _attn_bwd.has_indirect_call, 0
	.section	.AMDGPU.csdata,"",@progbits
; Kernel info:
; codeLenInByte = 66528
; TotalNumSgprs: 107
; NumVgprs: 256
; ScratchSize: 1276
; MemoryBound: 0
; FloatMode: 240
; IeeeMode: 1
; LDSByteSize: 0 bytes/workgroup (compile time only)
; SGPRBlocks: 0
; VGPRBlocks: 31
; NumSGPRsForWavesPerEU: 107
; NumVGPRsForWavesPerEU: 256
; Occupancy: 5
; WaveLimiterHint : 0
; COMPUTE_PGM_RSRC2:SCRATCH_EN: 1
; COMPUTE_PGM_RSRC2:USER_SGPR: 2
; COMPUTE_PGM_RSRC2:TRAP_HANDLER: 0
; COMPUTE_PGM_RSRC2:TGID_X_EN: 1
; COMPUTE_PGM_RSRC2:TGID_Y_EN: 1
; COMPUTE_PGM_RSRC2:TGID_Z_EN: 1
; COMPUTE_PGM_RSRC2:TIDIG_COMP_CNT: 0
	.text
	.p2alignl 7, 3214868480
	.fill 96, 4, 3214868480
	.section	.AMDGPU.gpr_maximums,"",@progbits
	.set amdgpu.max_num_vgpr, 0
	.set amdgpu.max_num_agpr, 0
	.set amdgpu.max_num_sgpr, 0
	.set amdgpu.max_num_named_barrier, 0
	.text
	.section	.debug_abbrev,"",@progbits
	.byte	1                               ; Abbreviation Code
	.byte	17                              ; DW_TAG_compile_unit
	.byte	1                               ; DW_CHILDREN_yes
	.byte	37                              ; DW_AT_producer
	.byte	14                              ; DW_FORM_strp
	.byte	19                              ; DW_AT_language
	.byte	5                               ; DW_FORM_data2
	.byte	3                               ; DW_AT_name
	.byte	14                              ; DW_FORM_strp
	.byte	16                              ; DW_AT_stmt_list
	.byte	23                              ; DW_FORM_sec_offset
	.byte	27                              ; DW_AT_comp_dir
	.byte	14                              ; DW_FORM_strp
	.byte	17                              ; DW_AT_low_pc
	.byte	1                               ; DW_FORM_addr
	.byte	18                              ; DW_AT_high_pc
	.byte	6                               ; DW_FORM_data4
	.byte	0                               ; EOM(1)
	.byte	0                               ; EOM(2)
	.byte	2                               ; Abbreviation Code
	.byte	46                              ; DW_TAG_subprogram
	.byte	0                               ; DW_CHILDREN_no
	.byte	3                               ; DW_AT_name
	.byte	14                              ; DW_FORM_strp
	.byte	32                              ; DW_AT_inline
	.byte	11                              ; DW_FORM_data1
	.byte	0                               ; EOM(1)
	.byte	0                               ; EOM(2)
	.byte	3                               ; Abbreviation Code
	.byte	46                              ; DW_TAG_subprogram
	.byte	1                               ; DW_CHILDREN_yes
	.byte	17                              ; DW_AT_low_pc
	.byte	1                               ; DW_FORM_addr
	.byte	18                              ; DW_AT_high_pc
	.byte	6                               ; DW_FORM_data4
	.byte	49                              ; DW_AT_abstract_origin
	.byte	19                              ; DW_FORM_ref4
	.byte	0                               ; EOM(1)
	.byte	0                               ; EOM(2)
	.byte	4                               ; Abbreviation Code
	.byte	29                              ; DW_TAG_inlined_subroutine
	.byte	0                               ; DW_CHILDREN_no
	.byte	49                              ; DW_AT_abstract_origin
	.byte	19                              ; DW_FORM_ref4
	.byte	85                              ; DW_AT_ranges
	.byte	23                              ; DW_FORM_sec_offset
	.byte	88                              ; DW_AT_call_file
	.byte	11                              ; DW_FORM_data1
	.byte	89                              ; DW_AT_call_line
	.byte	11                              ; DW_FORM_data1
	.byte	87                              ; DW_AT_call_column
	.byte	11                              ; DW_FORM_data1
	.byte	0                               ; EOM(1)
	.byte	0                               ; EOM(2)
	;; [unrolled: 1-line block ×3, first 2 shown]
	.section	.debug_info,"",@progbits
.Lcu_begin0:
	.long	.Ldebug_info_end0-.Ldebug_info_start0 ; Length of Unit
.Ldebug_info_start0:
	.short	4                               ; DWARF version number
	.long	.debug_abbrev                   ; Offset Into Abbrev. Section
	.byte	8                               ; Address Size (in bytes)
	.byte	1                               ; Abbrev [1] 0xb:0x68 DW_TAG_compile_unit
	.long	.Linfo_string0                  ; DW_AT_producer
	.short	2                               ; DW_AT_language
	.long	.Linfo_string1                  ; DW_AT_name
	.long	.Lline_table_start0             ; DW_AT_stmt_list
	.long	.Linfo_string2                  ; DW_AT_comp_dir
	.quad	.Lfunc_begin0                   ; DW_AT_low_pc
	.long	.Lfunc_end0-.Lfunc_begin0       ; DW_AT_high_pc
	.byte	2                               ; Abbrev [2] 0x2a:0x6 DW_TAG_subprogram
	.long	.Linfo_string3                  ; DW_AT_name
	.byte	1                               ; DW_AT_inline
	.byte	3                               ; Abbrev [3] 0x30:0x42 DW_TAG_subprogram
	.quad	.Lfunc_begin0                   ; DW_AT_low_pc
	.long	.Lfunc_end0-.Lfunc_begin0       ; DW_AT_high_pc
	.long	42                              ; DW_AT_abstract_origin
	.byte	4                               ; Abbrev [4] 0x41:0xc DW_TAG_inlined_subroutine
	.long	42                              ; DW_AT_abstract_origin
	.long	.Ldebug_ranges0                 ; DW_AT_ranges
	.byte	1                               ; DW_AT_call_file
	.byte	253                             ; DW_AT_call_line
	.byte	40                              ; DW_AT_call_column
	.byte	4                               ; Abbrev [4] 0x4d:0xc DW_TAG_inlined_subroutine
	.long	42                              ; DW_AT_abstract_origin
	.long	.Ldebug_ranges1                 ; DW_AT_ranges
	.byte	1                               ; DW_AT_call_file
	.byte	184                             ; DW_AT_call_line
	.byte	50                              ; DW_AT_call_column
	;; [unrolled: 6-line block ×4, first 2 shown]
	.byte	0                               ; End Of Children Mark
	.byte	0                               ; End Of Children Mark
.Ldebug_info_end0:
	.section	.debug_ranges,"",@progbits
.Ldebug_ranges0:
	.quad	.Ltmp0-.Lfunc_begin0
	.quad	.Ltmp1-.Lfunc_begin0
	;; [unrolled: 1-line block ×10, first 2 shown]
	.quad	0
	.quad	0
.Ldebug_ranges1:
	.quad	.Ltmp2-.Lfunc_begin0
	.quad	.Ltmp3-.Lfunc_begin0
	.quad	.Ltmp4-.Lfunc_begin0
	.quad	.Ltmp5-.Lfunc_begin0
	.quad	.Ltmp6-.Lfunc_begin0
	.quad	.Ltmp7-.Lfunc_begin0
	.quad	.Ltmp8-.Lfunc_begin0
	.quad	.Ltmp9-.Lfunc_begin0
	.quad	.Ltmp10-.Lfunc_begin0
	.quad	.Ltmp11-.Lfunc_begin0
	.quad	.Ltmp12-.Lfunc_begin0
	.quad	.Ltmp13-.Lfunc_begin0
	.quad	.Ltmp14-.Lfunc_begin0
	.quad	.Ltmp15-.Lfunc_begin0
	.quad	.Ltmp16-.Lfunc_begin0
	.quad	.Ltmp17-.Lfunc_begin0
	.quad	.Ltmp18-.Lfunc_begin0
	.quad	.Ltmp19-.Lfunc_begin0
	.quad	.Ltmp20-.Lfunc_begin0
	.quad	.Ltmp21-.Lfunc_begin0
	.quad	.Ltmp22-.Lfunc_begin0
	.quad	.Ltmp23-.Lfunc_begin0
	.quad	.Ltmp24-.Lfunc_begin0
	.quad	.Ltmp25-.Lfunc_begin0
	.quad	.Ltmp26-.Lfunc_begin0
	.quad	.Ltmp27-.Lfunc_begin0
	.quad	.Ltmp28-.Lfunc_begin0
	.quad	.Ltmp29-.Lfunc_begin0
	.quad	.Ltmp30-.Lfunc_begin0
	.quad	.Ltmp31-.Lfunc_begin0
	.quad	.Ltmp32-.Lfunc_begin0
	.quad	.Ltmp33-.Lfunc_begin0
	.quad	.Ltmp34-.Lfunc_begin0
	.quad	.Ltmp35-.Lfunc_begin0
	.quad	.Ltmp36-.Lfunc_begin0
	.quad	.Ltmp37-.Lfunc_begin0
	.quad	.Ltmp38-.Lfunc_begin0
	.quad	.Ltmp39-.Lfunc_begin0
	.quad	.Ltmp40-.Lfunc_begin0
	.quad	.Ltmp41-.Lfunc_begin0
	.quad	.Ltmp42-.Lfunc_begin0
	.quad	.Ltmp43-.Lfunc_begin0
	.quad	.Ltmp44-.Lfunc_begin0
	.quad	.Ltmp45-.Lfunc_begin0
	.quad	.Ltmp46-.Lfunc_begin0
	.quad	.Ltmp47-.Lfunc_begin0
	.quad	.Ltmp48-.Lfunc_begin0
	.quad	.Ltmp49-.Lfunc_begin0
	.quad	.Ltmp50-.Lfunc_begin0
	.quad	.Ltmp51-.Lfunc_begin0
	.quad	.Ltmp52-.Lfunc_begin0
	.quad	.Ltmp53-.Lfunc_begin0
	.quad	.Ltmp54-.Lfunc_begin0
	.quad	.Ltmp55-.Lfunc_begin0
	.quad	.Ltmp56-.Lfunc_begin0
	.quad	.Ltmp57-.Lfunc_begin0
	.quad	.Ltmp58-.Lfunc_begin0
	.quad	.Ltmp59-.Lfunc_begin0
	.quad	.Ltmp60-.Lfunc_begin0
	.quad	.Ltmp61-.Lfunc_begin0
	.quad	.Ltmp62-.Lfunc_begin0
	.quad	.Ltmp63-.Lfunc_begin0
	.quad	.Ltmp64-.Lfunc_begin0
	.quad	.Ltmp65-.Lfunc_begin0
	.quad	.Ltmp66-.Lfunc_begin0
	.quad	.Ltmp67-.Lfunc_begin0
	.quad	.Ltmp68-.Lfunc_begin0
	.quad	.Ltmp69-.Lfunc_begin0
	.quad	.Ltmp70-.Lfunc_begin0
	.quad	.Ltmp71-.Lfunc_begin0
	.quad	.Ltmp72-.Lfunc_begin0
	.quad	.Ltmp73-.Lfunc_begin0
	.quad	.Ltmp74-.Lfunc_begin0
	.quad	.Ltmp75-.Lfunc_begin0
	.quad	.Ltmp76-.Lfunc_begin0
	.quad	.Ltmp77-.Lfunc_begin0
	.quad	.Ltmp78-.Lfunc_begin0
	.quad	.Ltmp79-.Lfunc_begin0
	.quad	.Ltmp80-.Lfunc_begin0
	.quad	.Ltmp81-.Lfunc_begin0
	.quad	.Ltmp82-.Lfunc_begin0
	.quad	.Ltmp83-.Lfunc_begin0
	.quad	.Ltmp84-.Lfunc_begin0
	.quad	.Ltmp85-.Lfunc_begin0
	.quad	.Ltmp86-.Lfunc_begin0
	.quad	.Ltmp87-.Lfunc_begin0
	.quad	.Ltmp88-.Lfunc_begin0
	.quad	.Ltmp89-.Lfunc_begin0
	.quad	.Ltmp90-.Lfunc_begin0
	.quad	.Ltmp91-.Lfunc_begin0
	.quad	.Ltmp92-.Lfunc_begin0
	.quad	.Ltmp93-.Lfunc_begin0
	.quad	.Ltmp94-.Lfunc_begin0
	.quad	.Ltmp95-.Lfunc_begin0
	.quad	.Ltmp96-.Lfunc_begin0
	.quad	.Ltmp97-.Lfunc_begin0
	.quad	.Ltmp99-.Lfunc_begin0
	.quad	.Ltmp100-.Lfunc_begin0
	.quad	.Ltmp101-.Lfunc_begin0
	.quad	.Ltmp102-.Lfunc_begin0
	.quad	.Ltmp103-.Lfunc_begin0
	.quad	.Ltmp104-.Lfunc_begin0
	.quad	.Ltmp105-.Lfunc_begin0
	.quad	.Ltmp106-.Lfunc_begin0
	.quad	.Ltmp107-.Lfunc_begin0
	.quad	.Ltmp108-.Lfunc_begin0
	.quad	.Ltmp109-.Lfunc_begin0
	.quad	.Ltmp110-.Lfunc_begin0
	.quad	.Ltmp111-.Lfunc_begin0
	.quad	.Ltmp112-.Lfunc_begin0
	.quad	.Ltmp113-.Lfunc_begin0
	.quad	.Ltmp114-.Lfunc_begin0
	.quad	.Ltmp115-.Lfunc_begin0
	.quad	.Ltmp116-.Lfunc_begin0
	.quad	.Ltmp117-.Lfunc_begin0
	.quad	.Ltmp118-.Lfunc_begin0
	.quad	.Ltmp119-.Lfunc_begin0
	.quad	.Ltmp120-.Lfunc_begin0
	.quad	.Ltmp121-.Lfunc_begin0
	.quad	.Ltmp122-.Lfunc_begin0
	.quad	.Ltmp123-.Lfunc_begin0
	.quad	.Ltmp124-.Lfunc_begin0
	.quad	.Ltmp125-.Lfunc_begin0
	.quad	.Ltmp126-.Lfunc_begin0
	.quad	.Ltmp127-.Lfunc_begin0
	.quad	.Ltmp128-.Lfunc_begin0
	.quad	.Ltmp129-.Lfunc_begin0
	.quad	.Ltmp130-.Lfunc_begin0
	.quad	.Ltmp131-.Lfunc_begin0
	.quad	.Ltmp132-.Lfunc_begin0
	.quad	.Ltmp133-.Lfunc_begin0
	.quad	.Ltmp134-.Lfunc_begin0
	.quad	.Ltmp135-.Lfunc_begin0
	.quad	.Ltmp136-.Lfunc_begin0
	.quad	.Ltmp137-.Lfunc_begin0
	.quad	.Ltmp138-.Lfunc_begin0
	.quad	.Ltmp139-.Lfunc_begin0
	.quad	.Ltmp140-.Lfunc_begin0
	.quad	.Ltmp165-.Lfunc_begin0
	.quad	.Ltmp166-.Lfunc_begin0
	.quad	0
	.quad	0
.Ldebug_ranges2:
	.quad	.Ltmp89-.Lfunc_begin0
	.quad	.Ltmp90-.Lfunc_begin0
	;; [unrolled: 1-line block ×60, first 2 shown]
	.quad	0
	.quad	0
.Ldebug_ranges3:
	.quad	.Ltmp150-.Lfunc_begin0
	.quad	.Ltmp151-.Lfunc_begin0
	;; [unrolled: 1-line block ×24, first 2 shown]
	.quad	0
	.quad	0
	.section	.debug_str,"MS",@progbits,1
.Linfo_string0:
	.asciz	"triton"                        ; string offset=0
.Linfo_string1:
	.asciz	"attention_bwd.py"              ; string offset=7
.Linfo_string2:
	.asciz	"/root/src/amdgpu-assembly/repos/triton-lang__triton-aot" ; string offset=24
.Linfo_string3:
	.asciz	"_attn_bwd"                     ; string offset=80
	.section	".note.GNU-stack","",@progbits
	.amdgpu_metadata
---
amdhsa.kernels:
  - .args:
      - .address_space:  global
        .offset:         0
        .size:           8
        .value_kind:     global_buffer
      - .address_space:  global
        .offset:         8
        .size:           8
        .value_kind:     global_buffer
      - .address_space:  global
        .offset:         16
        .size:           8
        .value_kind:     global_buffer
      - .offset:         24
        .size:           4
        .value_kind:     by_value
      - .address_space:  global
        .offset:         32
        .size:           8
        .value_kind:     global_buffer
      - .address_space:  global
        .offset:         40
        .size:           8
        .value_kind:     global_buffer
      - .address_space:  global
        .offset:         48
        .size:           8
        .value_kind:     global_buffer
      - .address_space:  global
        .offset:         56
        .size:           8
        .value_kind:     global_buffer
      - .address_space:  global
        .offset:         64
        .size:           8
        .value_kind:     global_buffer
      - .address_space:  global
        .offset:         72
        .size:           8
        .value_kind:     global_buffer
      - .offset:         80
        .size:           4
        .value_kind:     by_value
      - .offset:         84
        .size:           4
        .value_kind:     by_value
      - .offset:         88
        .size:           4
        .value_kind:     by_value
      - .offset:         92
        .size:           4
        .value_kind:     by_value
      - .offset:         96
        .size:           4
        .value_kind:     by_value
      - .offset:         100
        .size:           4
        .value_kind:     by_value
      - .address_space:  global
        .offset:         104
        .size:           8
        .value_kind:     global_buffer
      - .address_space:  global
        .offset:         112
        .size:           8
        .value_kind:     global_buffer
    .group_segment_fixed_size: 0
    .kernarg_segment_align: 8
    .kernarg_segment_size: 120
    .max_flat_workgroup_size: 256
    .name:           _attn_bwd
    .private_segment_fixed_size: 1276
    .sgpr_count:     107
    .sgpr_spill_count: 92
    .symbol:         _attn_bwd.kd
    .uniform_work_group_size: 1
    .uses_dynamic_stack: false
    .vgpr_count:     256
    .vgpr_spill_count: 481
    .wavefront_size: 32
    .workgroup_processor_mode: 1
amdhsa.target:   amdgcn-amd-amdhsa--gfx1201
amdhsa.version:
  - 1
  - 2
...

	.end_amdgpu_metadata
	.section	.debug_line,"",@progbits
.Lline_table_start0:
